;; amdgpu-corpus repo=zjin-lcf/HeCBench kind=compiled arch=gfx90a opt=O3
	.text
	.amdgcn_target "amdgcn-amd-amdhsa--gfx90a"
	.amdhsa_code_object_version 6
	.protected	_Z9printAIGAPKiS0_S0_iii ; -- Begin function _Z9printAIGAPKiS0_S0_iii
	.globl	_Z9printAIGAPKiS0_S0_iii
	.p2align	8
	.type	_Z9printAIGAPKiS0_S0_iii,@function
_Z9printAIGAPKiS0_S0_iii:               ; @_Z9printAIGAPKiS0_S0_iii
; %bb.0:
	s_load_dword s2, s[4:5], 0x34
	s_add_u32 s0, s4, 40
	s_addc_u32 s1, s5, 0
	v_sub_u32_e32 v0, 0, v0
	s_waitcnt lgkmcnt(0)
	s_and_b32 s2, s2, 0xffff
	s_mul_i32 s6, s6, s2
	v_cmp_eq_u32_e32 vcc, s6, v0
	s_and_saveexec_b64 s[2:3], vcc
	s_cbranch_execz .LBB0_1155
; %bb.1:
	s_load_dwordx2 s[2:3], s[0:1], 0x50
	v_mbcnt_lo_u32_b32 v0, -1, 0
	v_mbcnt_hi_u32_b32 v42, -1, v0
	v_readfirstlane_b32 s0, v42
	v_cmp_eq_u32_e64 s[0:1], s0, v42
	v_pk_mov_b32 v[6:7], 0, 0
	s_and_saveexec_b64 s[6:7], s[0:1]
	s_cbranch_execz .LBB0_7
; %bb.2:
	v_mov_b32_e32 v0, 0
	s_waitcnt lgkmcnt(0)
	global_load_dwordx2 v[4:5], v0, s[2:3] offset:24 glc
	s_waitcnt vmcnt(0)
	buffer_invl2
	buffer_wbinvl1_vol
	global_load_dwordx2 v[2:3], v0, s[2:3] offset:40
	global_load_dwordx2 v[6:7], v0, s[2:3]
	s_waitcnt vmcnt(1)
	v_and_b32_e32 v1, v2, v4
	v_and_b32_e32 v2, v3, v5
	v_mul_lo_u32 v2, v2, 24
	v_mul_hi_u32 v3, v1, 24
	v_mul_lo_u32 v1, v1, 24
	v_add_u32_e32 v3, v3, v2
	s_waitcnt vmcnt(0)
	v_add_co_u32_e32 v2, vcc, v6, v1
	v_addc_co_u32_e32 v3, vcc, v7, v3, vcc
	global_load_dwordx2 v[2:3], v[2:3], off glc
	s_waitcnt vmcnt(0)
	global_atomic_cmpswap_x2 v[6:7], v0, v[2:5], s[2:3] offset:24 glc
	s_waitcnt vmcnt(0)
	buffer_invl2
	buffer_wbinvl1_vol
	v_cmp_ne_u64_e32 vcc, v[6:7], v[4:5]
	s_and_saveexec_b64 s[8:9], vcc
	s_cbranch_execz .LBB0_6
; %bb.3:
	s_mov_b64 s[10:11], 0
.LBB0_4:                                ; =>This Inner Loop Header: Depth=1
	s_sleep 1
	global_load_dwordx2 v[2:3], v0, s[2:3] offset:40
	global_load_dwordx2 v[8:9], v0, s[2:3]
	v_pk_mov_b32 v[4:5], v[6:7], v[6:7] op_sel:[0,1]
	s_waitcnt vmcnt(1)
	v_and_b32_e32 v2, v2, v4
	v_and_b32_e32 v1, v3, v5
	s_waitcnt vmcnt(0)
	v_mad_u64_u32 v[2:3], s[12:13], v2, 24, v[8:9]
	v_mov_b32_e32 v6, v3
	v_mad_u64_u32 v[6:7], s[12:13], v1, 24, v[6:7]
	v_mov_b32_e32 v3, v6
	global_load_dwordx2 v[2:3], v[2:3], off glc
	s_waitcnt vmcnt(0)
	global_atomic_cmpswap_x2 v[6:7], v0, v[2:5], s[2:3] offset:24 glc
	s_waitcnt vmcnt(0)
	buffer_invl2
	buffer_wbinvl1_vol
	v_cmp_eq_u64_e32 vcc, v[6:7], v[4:5]
	s_or_b64 s[10:11], vcc, s[10:11]
	s_andn2_b64 exec, exec, s[10:11]
	s_cbranch_execnz .LBB0_4
; %bb.5:
	s_or_b64 exec, exec, s[10:11]
.LBB0_6:
	s_or_b64 exec, exec, s[8:9]
.LBB0_7:
	s_or_b64 exec, exec, s[6:7]
	v_mov_b32_e32 v5, 0
	s_waitcnt lgkmcnt(0)
	global_load_dwordx2 v[8:9], v5, s[2:3] offset:40
	global_load_dwordx4 v[0:3], v5, s[2:3]
	v_readfirstlane_b32 s6, v6
	v_readfirstlane_b32 s7, v7
	s_mov_b64 s[8:9], exec
	s_waitcnt vmcnt(1)
	v_readfirstlane_b32 s10, v8
	v_readfirstlane_b32 s11, v9
	s_and_b64 s[10:11], s[6:7], s[10:11]
	s_mul_i32 s12, s11, 24
	s_mul_hi_u32 s13, s10, 24
	s_mul_i32 s14, s10, 24
	s_add_i32 s12, s13, s12
	v_mov_b32_e32 v4, s12
	s_waitcnt vmcnt(0)
	v_add_co_u32_e32 v8, vcc, s14, v0
	v_addc_co_u32_e32 v9, vcc, v1, v4, vcc
	s_and_saveexec_b64 s[12:13], s[0:1]
	s_cbranch_execz .LBB0_9
; %bb.8:
	v_pk_mov_b32 v[10:11], s[8:9], s[8:9] op_sel:[0,1]
	v_mov_b32_e32 v12, 2
	v_mov_b32_e32 v13, 1
	global_store_dwordx4 v[8:9], v[10:13], off offset:8
.LBB0_9:
	s_or_b64 exec, exec, s[12:13]
	s_lshl_b64 s[8:9], s[10:11], 12
	v_mov_b32_e32 v4, s9
	v_add_co_u32_e32 v2, vcc, s8, v2
	v_addc_co_u32_e32 v3, vcc, v3, v4, vcc
	s_mov_b32 s8, 0
	v_lshlrev_b32_e32 v43, 6, v42
	v_add_co_u32_e32 v10, vcc, v2, v43
	v_mov_b32_e32 v4, 33
	v_mov_b32_e32 v6, v5
	;; [unrolled: 1-line block ×3, first 2 shown]
	v_readfirstlane_b32 s12, v2
	v_readfirstlane_b32 s13, v3
	s_mov_b32 s9, s8
	v_addc_co_u32_e32 v11, vcc, 0, v3, vcc
	s_mov_b32 s10, s8
	s_mov_b32 s11, s8
	s_nop 0
	global_store_dwordx4 v43, v[4:7], s[12:13]
	v_pk_mov_b32 v[2:3], s[8:9], s[8:9] op_sel:[0,1]
	v_pk_mov_b32 v[4:5], s[10:11], s[10:11] op_sel:[0,1]
	global_store_dwordx4 v43, v[2:5], s[12:13] offset:16
	global_store_dwordx4 v43, v[2:5], s[12:13] offset:32
	;; [unrolled: 1-line block ×3, first 2 shown]
	s_and_saveexec_b64 s[8:9], s[0:1]
	s_cbranch_execz .LBB0_17
; %bb.10:
	v_mov_b32_e32 v6, 0
	global_load_dwordx2 v[14:15], v6, s[2:3] offset:32 glc
	global_load_dwordx2 v[2:3], v6, s[2:3] offset:40
	v_mov_b32_e32 v12, s6
	v_mov_b32_e32 v13, s7
	s_waitcnt vmcnt(0)
	v_and_b32_e32 v2, s6, v2
	v_and_b32_e32 v3, s7, v3
	v_mul_lo_u32 v3, v3, 24
	v_mul_hi_u32 v4, v2, 24
	v_mul_lo_u32 v2, v2, 24
	v_add_u32_e32 v3, v4, v3
	v_add_co_u32_e32 v4, vcc, v0, v2
	v_addc_co_u32_e32 v5, vcc, v1, v3, vcc
	global_store_dwordx2 v[4:5], v[14:15], off
	buffer_wbl2
	s_waitcnt vmcnt(0)
	global_atomic_cmpswap_x2 v[2:3], v6, v[12:15], s[2:3] offset:32 glc
	s_waitcnt vmcnt(0)
	v_cmp_ne_u64_e32 vcc, v[2:3], v[14:15]
	s_and_saveexec_b64 s[10:11], vcc
	s_cbranch_execz .LBB0_13
; %bb.11:
	s_mov_b64 s[12:13], 0
.LBB0_12:                               ; =>This Inner Loop Header: Depth=1
	s_sleep 1
	global_store_dwordx2 v[4:5], v[2:3], off
	v_mov_b32_e32 v0, s6
	v_mov_b32_e32 v1, s7
	buffer_wbl2
	s_waitcnt vmcnt(0)
	global_atomic_cmpswap_x2 v[0:1], v6, v[0:3], s[2:3] offset:32 glc
	s_waitcnt vmcnt(0)
	v_cmp_eq_u64_e32 vcc, v[0:1], v[2:3]
	s_or_b64 s[12:13], vcc, s[12:13]
	v_pk_mov_b32 v[2:3], v[0:1], v[0:1] op_sel:[0,1]
	s_andn2_b64 exec, exec, s[12:13]
	s_cbranch_execnz .LBB0_12
.LBB0_13:
	s_or_b64 exec, exec, s[10:11]
	v_mov_b32_e32 v3, 0
	global_load_dwordx2 v[0:1], v3, s[2:3] offset:16
	s_mov_b64 s[10:11], exec
	v_mbcnt_lo_u32_b32 v2, s10, 0
	v_mbcnt_hi_u32_b32 v2, s11, v2
	v_cmp_eq_u32_e32 vcc, 0, v2
	s_and_saveexec_b64 s[12:13], vcc
	s_cbranch_execz .LBB0_15
; %bb.14:
	s_bcnt1_i32_b64 s10, s[10:11]
	v_mov_b32_e32 v2, s10
	buffer_wbl2
	s_waitcnt vmcnt(0)
	global_atomic_add_x2 v[0:1], v[2:3], off offset:8
.LBB0_15:
	s_or_b64 exec, exec, s[12:13]
	s_waitcnt vmcnt(0)
	global_load_dwordx2 v[2:3], v[0:1], off offset:16
	s_waitcnt vmcnt(0)
	v_cmp_eq_u64_e32 vcc, 0, v[2:3]
	s_cbranch_vccnz .LBB0_17
; %bb.16:
	global_load_dword v0, v[0:1], off offset:24
	v_mov_b32_e32 v1, 0
	buffer_wbl2
	s_waitcnt vmcnt(0)
	global_store_dwordx2 v[2:3], v[0:1], off
	v_and_b32_e32 v0, 0xffffff, v0
	v_readfirstlane_b32 m0, v0
	s_sendmsg sendmsg(MSG_INTERRUPT)
.LBB0_17:
	s_or_b64 exec, exec, s[8:9]
	s_branch .LBB0_21
.LBB0_18:                               ;   in Loop: Header=BB0_21 Depth=1
	s_or_b64 exec, exec, s[8:9]
	v_readfirstlane_b32 s8, v0
	s_cmp_eq_u32 s8, 0
	s_cbranch_scc1 .LBB0_20
; %bb.19:                               ;   in Loop: Header=BB0_21 Depth=1
	s_sleep 1
	s_cbranch_execnz .LBB0_21
	s_branch .LBB0_23
.LBB0_20:
	s_branch .LBB0_23
.LBB0_21:                               ; =>This Inner Loop Header: Depth=1
	v_mov_b32_e32 v0, 1
	s_and_saveexec_b64 s[8:9], s[0:1]
	s_cbranch_execz .LBB0_18
; %bb.22:                               ;   in Loop: Header=BB0_21 Depth=1
	global_load_dword v0, v[8:9], off offset:20 glc
	s_waitcnt vmcnt(0)
	buffer_invl2
	buffer_wbinvl1_vol
	v_and_b32_e32 v0, 1, v0
	s_branch .LBB0_18
.LBB0_23:
	global_load_dwordx2 v[0:1], v[10:11], off
	s_and_saveexec_b64 s[8:9], s[0:1]
	s_cbranch_execz .LBB0_26
; %bb.24:
	v_mov_b32_e32 v8, 0
	global_load_dwordx2 v[6:7], v8, s[2:3] offset:40
	global_load_dwordx2 v[10:11], v8, s[2:3] offset:24 glc
	global_load_dwordx2 v[12:13], v8, s[2:3]
	v_mov_b32_e32 v3, s7
	s_mov_b64 s[0:1], 0
	s_waitcnt vmcnt(2)
	v_add_co_u32_e32 v5, vcc, 1, v6
	v_addc_co_u32_e32 v9, vcc, 0, v7, vcc
	v_add_co_u32_e32 v2, vcc, s6, v5
	v_addc_co_u32_e32 v3, vcc, v9, v3, vcc
	v_cmp_eq_u64_e32 vcc, 0, v[2:3]
	v_cndmask_b32_e32 v3, v3, v9, vcc
	v_cndmask_b32_e32 v2, v2, v5, vcc
	v_and_b32_e32 v5, v3, v7
	v_and_b32_e32 v6, v2, v6
	v_mul_lo_u32 v5, v5, 24
	v_mul_hi_u32 v7, v6, 24
	v_mul_lo_u32 v6, v6, 24
	v_add_u32_e32 v5, v7, v5
	s_waitcnt vmcnt(0)
	v_add_co_u32_e32 v6, vcc, v12, v6
	v_addc_co_u32_e32 v7, vcc, v13, v5, vcc
	v_mov_b32_e32 v4, v10
	global_store_dwordx2 v[6:7], v[10:11], off
	v_mov_b32_e32 v5, v11
	buffer_wbl2
	s_waitcnt vmcnt(0)
	global_atomic_cmpswap_x2 v[4:5], v8, v[2:5], s[2:3] offset:24 glc
	s_waitcnt vmcnt(0)
	v_cmp_ne_u64_e32 vcc, v[4:5], v[10:11]
	s_and_b64 exec, exec, vcc
	s_cbranch_execz .LBB0_26
.LBB0_25:                               ; =>This Inner Loop Header: Depth=1
	s_sleep 1
	global_store_dwordx2 v[6:7], v[4:5], off
	buffer_wbl2
	s_waitcnt vmcnt(0)
	global_atomic_cmpswap_x2 v[10:11], v8, v[2:5], s[2:3] offset:24 glc
	s_waitcnt vmcnt(0)
	v_cmp_eq_u64_e32 vcc, v[10:11], v[4:5]
	s_or_b64 s[0:1], vcc, s[0:1]
	v_pk_mov_b32 v[4:5], v[10:11], v[10:11] op_sel:[0,1]
	s_andn2_b64 exec, exec, s[0:1]
	s_cbranch_execnz .LBB0_25
.LBB0_26:
	s_or_b64 exec, exec, s[8:9]
	s_getpc_b64 s[6:7]
	s_add_u32 s6, s6, .str@rel32@lo+4
	s_addc_u32 s7, s7, .str@rel32@hi+12
	s_cmp_lg_u64 s[6:7], 0
	s_cbranch_scc0 .LBB0_111
; %bb.27:
	s_waitcnt vmcnt(0)
	v_and_b32_e32 v6, -3, v0
	v_mov_b32_e32 v7, v1
	s_mov_b64 s[8:9], 18
	v_mov_b32_e32 v27, 0
	v_mov_b32_e32 v4, 2
	;; [unrolled: 1-line block ×3, first 2 shown]
	s_branch .LBB0_29
.LBB0_28:                               ;   in Loop: Header=BB0_29 Depth=1
	s_or_b64 exec, exec, s[14:15]
	s_sub_u32 s8, s8, s10
	s_subb_u32 s9, s9, s11
	s_add_u32 s6, s6, s10
	s_addc_u32 s7, s7, s11
	s_cmp_lg_u64 s[8:9], 0
	s_cbranch_scc0 .LBB0_110
.LBB0_29:                               ; =>This Loop Header: Depth=1
                                        ;     Child Loop BB0_32 Depth 2
                                        ;     Child Loop BB0_39 Depth 2
	;; [unrolled: 1-line block ×11, first 2 shown]
	v_cmp_lt_u64_e64 s[0:1], s[8:9], 56
	s_and_b64 s[0:1], s[0:1], exec
	v_cmp_gt_u64_e64 s[0:1], s[8:9], 7
	s_cselect_b32 s11, s9, 0
	s_cselect_b32 s10, s8, 56
	s_and_b64 vcc, exec, s[0:1]
	s_cbranch_vccnz .LBB0_34
; %bb.30:                               ;   in Loop: Header=BB0_29 Depth=1
	s_mov_b64 s[0:1], 0
	s_cmp_eq_u64 s[8:9], 0
	s_waitcnt vmcnt(0)
	v_pk_mov_b32 v[8:9], 0, 0
	s_cbranch_scc1 .LBB0_33
; %bb.31:                               ;   in Loop: Header=BB0_29 Depth=1
	s_lshl_b64 s[12:13], s[10:11], 3
	s_mov_b64 s[14:15], 0
	v_pk_mov_b32 v[8:9], 0, 0
	s_mov_b64 s[16:17], s[6:7]
.LBB0_32:                               ;   Parent Loop BB0_29 Depth=1
                                        ; =>  This Inner Loop Header: Depth=2
	global_load_ubyte v2, v27, s[16:17]
	s_waitcnt vmcnt(0)
	v_and_b32_e32 v26, 0xffff, v2
	v_lshlrev_b64 v[2:3], s14, v[26:27]
	s_add_u32 s14, s14, 8
	s_addc_u32 s15, s15, 0
	s_add_u32 s16, s16, 1
	s_addc_u32 s17, s17, 0
	v_or_b32_e32 v8, v2, v8
	s_cmp_lg_u32 s12, s14
	v_or_b32_e32 v9, v3, v9
	s_cbranch_scc1 .LBB0_32
.LBB0_33:                               ;   in Loop: Header=BB0_29 Depth=1
	s_mov_b32 s16, 0
	s_andn2_b64 vcc, exec, s[0:1]
	s_mov_b64 s[0:1], s[6:7]
	s_cbranch_vccz .LBB0_35
	s_branch .LBB0_36
.LBB0_34:                               ;   in Loop: Header=BB0_29 Depth=1
                                        ; implicit-def: $sgpr16
	s_mov_b64 s[0:1], s[6:7]
.LBB0_35:                               ;   in Loop: Header=BB0_29 Depth=1
	global_load_dwordx2 v[8:9], v27, s[6:7]
	s_add_i32 s16, s10, -8
	s_add_u32 s0, s6, 8
	s_addc_u32 s1, s7, 0
.LBB0_36:                               ;   in Loop: Header=BB0_29 Depth=1
	s_cmp_gt_u32 s16, 7
	s_cbranch_scc1 .LBB0_40
; %bb.37:                               ;   in Loop: Header=BB0_29 Depth=1
	s_cmp_eq_u32 s16, 0
	s_cbranch_scc1 .LBB0_41
; %bb.38:                               ;   in Loop: Header=BB0_29 Depth=1
	s_mov_b64 s[12:13], 0
	v_pk_mov_b32 v[10:11], 0, 0
	s_mov_b64 s[14:15], 0
.LBB0_39:                               ;   Parent Loop BB0_29 Depth=1
                                        ; =>  This Inner Loop Header: Depth=2
	s_add_u32 s18, s0, s14
	s_addc_u32 s19, s1, s15
	global_load_ubyte v2, v27, s[18:19]
	s_add_u32 s14, s14, 1
	s_addc_u32 s15, s15, 0
	s_waitcnt vmcnt(0)
	v_and_b32_e32 v26, 0xffff, v2
	v_lshlrev_b64 v[2:3], s12, v[26:27]
	s_add_u32 s12, s12, 8
	s_addc_u32 s13, s13, 0
	v_or_b32_e32 v10, v2, v10
	s_cmp_lg_u32 s16, s14
	v_or_b32_e32 v11, v3, v11
	s_cbranch_scc1 .LBB0_39
	s_branch .LBB0_42
.LBB0_40:                               ;   in Loop: Header=BB0_29 Depth=1
                                        ; implicit-def: $vgpr10_vgpr11
                                        ; implicit-def: $sgpr17
	s_branch .LBB0_43
.LBB0_41:                               ;   in Loop: Header=BB0_29 Depth=1
	v_pk_mov_b32 v[10:11], 0, 0
.LBB0_42:                               ;   in Loop: Header=BB0_29 Depth=1
	s_mov_b32 s17, 0
	s_cbranch_execnz .LBB0_44
.LBB0_43:                               ;   in Loop: Header=BB0_29 Depth=1
	global_load_dwordx2 v[10:11], v27, s[0:1]
	s_add_i32 s17, s16, -8
	s_add_u32 s0, s0, 8
	s_addc_u32 s1, s1, 0
.LBB0_44:                               ;   in Loop: Header=BB0_29 Depth=1
	s_cmp_gt_u32 s17, 7
	s_cbranch_scc1 .LBB0_48
; %bb.45:                               ;   in Loop: Header=BB0_29 Depth=1
	s_cmp_eq_u32 s17, 0
	s_cbranch_scc1 .LBB0_49
; %bb.46:                               ;   in Loop: Header=BB0_29 Depth=1
	s_mov_b64 s[12:13], 0
	v_pk_mov_b32 v[12:13], 0, 0
	s_mov_b64 s[14:15], 0
.LBB0_47:                               ;   Parent Loop BB0_29 Depth=1
                                        ; =>  This Inner Loop Header: Depth=2
	s_add_u32 s18, s0, s14
	s_addc_u32 s19, s1, s15
	global_load_ubyte v2, v27, s[18:19]
	s_add_u32 s14, s14, 1
	s_addc_u32 s15, s15, 0
	s_waitcnt vmcnt(0)
	v_and_b32_e32 v26, 0xffff, v2
	v_lshlrev_b64 v[2:3], s12, v[26:27]
	s_add_u32 s12, s12, 8
	s_addc_u32 s13, s13, 0
	v_or_b32_e32 v12, v2, v12
	s_cmp_lg_u32 s17, s14
	v_or_b32_e32 v13, v3, v13
	s_cbranch_scc1 .LBB0_47
	s_branch .LBB0_50
.LBB0_48:                               ;   in Loop: Header=BB0_29 Depth=1
                                        ; implicit-def: $sgpr16
	s_branch .LBB0_51
.LBB0_49:                               ;   in Loop: Header=BB0_29 Depth=1
	v_pk_mov_b32 v[12:13], 0, 0
.LBB0_50:                               ;   in Loop: Header=BB0_29 Depth=1
	s_mov_b32 s16, 0
	s_cbranch_execnz .LBB0_52
.LBB0_51:                               ;   in Loop: Header=BB0_29 Depth=1
	global_load_dwordx2 v[12:13], v27, s[0:1]
	s_add_i32 s16, s17, -8
	s_add_u32 s0, s0, 8
	s_addc_u32 s1, s1, 0
.LBB0_52:                               ;   in Loop: Header=BB0_29 Depth=1
	s_cmp_gt_u32 s16, 7
	s_cbranch_scc1 .LBB0_56
; %bb.53:                               ;   in Loop: Header=BB0_29 Depth=1
	s_cmp_eq_u32 s16, 0
	s_cbranch_scc1 .LBB0_57
; %bb.54:                               ;   in Loop: Header=BB0_29 Depth=1
	s_mov_b64 s[12:13], 0
	v_pk_mov_b32 v[14:15], 0, 0
	s_mov_b64 s[14:15], 0
.LBB0_55:                               ;   Parent Loop BB0_29 Depth=1
                                        ; =>  This Inner Loop Header: Depth=2
	s_add_u32 s18, s0, s14
	s_addc_u32 s19, s1, s15
	global_load_ubyte v2, v27, s[18:19]
	s_add_u32 s14, s14, 1
	s_addc_u32 s15, s15, 0
	s_waitcnt vmcnt(0)
	v_and_b32_e32 v26, 0xffff, v2
	v_lshlrev_b64 v[2:3], s12, v[26:27]
	s_add_u32 s12, s12, 8
	s_addc_u32 s13, s13, 0
	v_or_b32_e32 v14, v2, v14
	s_cmp_lg_u32 s16, s14
	v_or_b32_e32 v15, v3, v15
	s_cbranch_scc1 .LBB0_55
	s_branch .LBB0_58
.LBB0_56:                               ;   in Loop: Header=BB0_29 Depth=1
                                        ; implicit-def: $vgpr14_vgpr15
                                        ; implicit-def: $sgpr17
	s_branch .LBB0_59
.LBB0_57:                               ;   in Loop: Header=BB0_29 Depth=1
	v_pk_mov_b32 v[14:15], 0, 0
.LBB0_58:                               ;   in Loop: Header=BB0_29 Depth=1
	s_mov_b32 s17, 0
	s_cbranch_execnz .LBB0_60
.LBB0_59:                               ;   in Loop: Header=BB0_29 Depth=1
	global_load_dwordx2 v[14:15], v27, s[0:1]
	s_add_i32 s17, s16, -8
	s_add_u32 s0, s0, 8
	s_addc_u32 s1, s1, 0
.LBB0_60:                               ;   in Loop: Header=BB0_29 Depth=1
	s_cmp_gt_u32 s17, 7
	s_cbranch_scc1 .LBB0_64
; %bb.61:                               ;   in Loop: Header=BB0_29 Depth=1
	s_cmp_eq_u32 s17, 0
	s_cbranch_scc1 .LBB0_65
; %bb.62:                               ;   in Loop: Header=BB0_29 Depth=1
	s_mov_b64 s[12:13], 0
	v_pk_mov_b32 v[16:17], 0, 0
	s_mov_b64 s[14:15], 0
.LBB0_63:                               ;   Parent Loop BB0_29 Depth=1
                                        ; =>  This Inner Loop Header: Depth=2
	s_add_u32 s18, s0, s14
	s_addc_u32 s19, s1, s15
	global_load_ubyte v2, v27, s[18:19]
	s_add_u32 s14, s14, 1
	s_addc_u32 s15, s15, 0
	s_waitcnt vmcnt(0)
	v_and_b32_e32 v26, 0xffff, v2
	v_lshlrev_b64 v[2:3], s12, v[26:27]
	s_add_u32 s12, s12, 8
	s_addc_u32 s13, s13, 0
	v_or_b32_e32 v16, v2, v16
	s_cmp_lg_u32 s17, s14
	v_or_b32_e32 v17, v3, v17
	s_cbranch_scc1 .LBB0_63
	s_branch .LBB0_66
.LBB0_64:                               ;   in Loop: Header=BB0_29 Depth=1
                                        ; implicit-def: $sgpr16
	s_branch .LBB0_67
.LBB0_65:                               ;   in Loop: Header=BB0_29 Depth=1
	v_pk_mov_b32 v[16:17], 0, 0
.LBB0_66:                               ;   in Loop: Header=BB0_29 Depth=1
	s_mov_b32 s16, 0
	s_cbranch_execnz .LBB0_68
.LBB0_67:                               ;   in Loop: Header=BB0_29 Depth=1
	global_load_dwordx2 v[16:17], v27, s[0:1]
	s_add_i32 s16, s17, -8
	s_add_u32 s0, s0, 8
	s_addc_u32 s1, s1, 0
.LBB0_68:                               ;   in Loop: Header=BB0_29 Depth=1
	s_cmp_gt_u32 s16, 7
	s_cbranch_scc1 .LBB0_72
; %bb.69:                               ;   in Loop: Header=BB0_29 Depth=1
	s_cmp_eq_u32 s16, 0
	s_cbranch_scc1 .LBB0_73
; %bb.70:                               ;   in Loop: Header=BB0_29 Depth=1
	s_mov_b64 s[12:13], 0
	v_pk_mov_b32 v[18:19], 0, 0
	s_mov_b64 s[14:15], 0
.LBB0_71:                               ;   Parent Loop BB0_29 Depth=1
                                        ; =>  This Inner Loop Header: Depth=2
	s_add_u32 s18, s0, s14
	s_addc_u32 s19, s1, s15
	global_load_ubyte v2, v27, s[18:19]
	s_add_u32 s14, s14, 1
	s_addc_u32 s15, s15, 0
	s_waitcnt vmcnt(0)
	v_and_b32_e32 v26, 0xffff, v2
	v_lshlrev_b64 v[2:3], s12, v[26:27]
	s_add_u32 s12, s12, 8
	s_addc_u32 s13, s13, 0
	v_or_b32_e32 v18, v2, v18
	s_cmp_lg_u32 s16, s14
	v_or_b32_e32 v19, v3, v19
	s_cbranch_scc1 .LBB0_71
	s_branch .LBB0_74
.LBB0_72:                               ;   in Loop: Header=BB0_29 Depth=1
                                        ; implicit-def: $vgpr18_vgpr19
                                        ; implicit-def: $sgpr17
	s_branch .LBB0_75
.LBB0_73:                               ;   in Loop: Header=BB0_29 Depth=1
	v_pk_mov_b32 v[18:19], 0, 0
.LBB0_74:                               ;   in Loop: Header=BB0_29 Depth=1
	s_mov_b32 s17, 0
	s_cbranch_execnz .LBB0_76
.LBB0_75:                               ;   in Loop: Header=BB0_29 Depth=1
	global_load_dwordx2 v[18:19], v27, s[0:1]
	s_add_i32 s17, s16, -8
	s_add_u32 s0, s0, 8
	s_addc_u32 s1, s1, 0
.LBB0_76:                               ;   in Loop: Header=BB0_29 Depth=1
	s_cmp_gt_u32 s17, 7
	s_cbranch_scc1 .LBB0_80
; %bb.77:                               ;   in Loop: Header=BB0_29 Depth=1
	s_cmp_eq_u32 s17, 0
	s_cbranch_scc1 .LBB0_81
; %bb.78:                               ;   in Loop: Header=BB0_29 Depth=1
	s_mov_b64 s[12:13], 0
	v_pk_mov_b32 v[20:21], 0, 0
	s_mov_b64 s[14:15], s[0:1]
.LBB0_79:                               ;   Parent Loop BB0_29 Depth=1
                                        ; =>  This Inner Loop Header: Depth=2
	global_load_ubyte v2, v27, s[14:15]
	s_add_i32 s17, s17, -1
	s_waitcnt vmcnt(0)
	v_and_b32_e32 v26, 0xffff, v2
	v_lshlrev_b64 v[2:3], s12, v[26:27]
	s_add_u32 s12, s12, 8
	s_addc_u32 s13, s13, 0
	s_add_u32 s14, s14, 1
	s_addc_u32 s15, s15, 0
	v_or_b32_e32 v20, v2, v20
	s_cmp_lg_u32 s17, 0
	v_or_b32_e32 v21, v3, v21
	s_cbranch_scc1 .LBB0_79
	s_branch .LBB0_82
.LBB0_80:                               ;   in Loop: Header=BB0_29 Depth=1
	s_branch .LBB0_83
.LBB0_81:                               ;   in Loop: Header=BB0_29 Depth=1
	v_pk_mov_b32 v[20:21], 0, 0
.LBB0_82:                               ;   in Loop: Header=BB0_29 Depth=1
	s_cbranch_execnz .LBB0_84
.LBB0_83:                               ;   in Loop: Header=BB0_29 Depth=1
	global_load_dwordx2 v[20:21], v27, s[0:1]
.LBB0_84:                               ;   in Loop: Header=BB0_29 Depth=1
	v_readfirstlane_b32 s0, v42
	v_cmp_eq_u32_e64 s[0:1], s0, v42
	v_pk_mov_b32 v[2:3], 0, 0
	s_and_saveexec_b64 s[12:13], s[0:1]
	s_cbranch_execz .LBB0_90
; %bb.85:                               ;   in Loop: Header=BB0_29 Depth=1
	global_load_dwordx2 v[24:25], v27, s[2:3] offset:24 glc
	s_waitcnt vmcnt(0)
	buffer_invl2
	buffer_wbinvl1_vol
	global_load_dwordx2 v[2:3], v27, s[2:3] offset:40
	global_load_dwordx2 v[22:23], v27, s[2:3]
	s_waitcnt vmcnt(1)
	v_and_b32_e32 v2, v2, v24
	v_and_b32_e32 v3, v3, v25
	v_mul_lo_u32 v3, v3, 24
	v_mul_hi_u32 v26, v2, 24
	v_mul_lo_u32 v2, v2, 24
	v_add_u32_e32 v3, v26, v3
	s_waitcnt vmcnt(0)
	v_add_co_u32_e32 v2, vcc, v22, v2
	v_addc_co_u32_e32 v3, vcc, v23, v3, vcc
	global_load_dwordx2 v[22:23], v[2:3], off glc
	s_waitcnt vmcnt(0)
	global_atomic_cmpswap_x2 v[2:3], v27, v[22:25], s[2:3] offset:24 glc
	s_waitcnt vmcnt(0)
	buffer_invl2
	buffer_wbinvl1_vol
	v_cmp_ne_u64_e32 vcc, v[2:3], v[24:25]
	s_and_saveexec_b64 s[14:15], vcc
	s_cbranch_execz .LBB0_89
; %bb.86:                               ;   in Loop: Header=BB0_29 Depth=1
	s_mov_b64 s[16:17], 0
.LBB0_87:                               ;   Parent Loop BB0_29 Depth=1
                                        ; =>  This Inner Loop Header: Depth=2
	s_sleep 1
	global_load_dwordx2 v[22:23], v27, s[2:3] offset:40
	global_load_dwordx2 v[28:29], v27, s[2:3]
	v_pk_mov_b32 v[24:25], v[2:3], v[2:3] op_sel:[0,1]
	s_waitcnt vmcnt(1)
	v_and_b32_e32 v2, v22, v24
	s_waitcnt vmcnt(0)
	v_mad_u64_u32 v[2:3], s[18:19], v2, 24, v[28:29]
	v_and_b32_e32 v23, v23, v25
	v_mov_b32_e32 v22, v3
	v_mad_u64_u32 v[22:23], s[18:19], v23, 24, v[22:23]
	v_mov_b32_e32 v3, v22
	global_load_dwordx2 v[22:23], v[2:3], off glc
	s_waitcnt vmcnt(0)
	global_atomic_cmpswap_x2 v[2:3], v27, v[22:25], s[2:3] offset:24 glc
	s_waitcnt vmcnt(0)
	buffer_invl2
	buffer_wbinvl1_vol
	v_cmp_eq_u64_e32 vcc, v[2:3], v[24:25]
	s_or_b64 s[16:17], vcc, s[16:17]
	s_andn2_b64 exec, exec, s[16:17]
	s_cbranch_execnz .LBB0_87
; %bb.88:                               ;   in Loop: Header=BB0_29 Depth=1
	s_or_b64 exec, exec, s[16:17]
.LBB0_89:                               ;   in Loop: Header=BB0_29 Depth=1
	s_or_b64 exec, exec, s[14:15]
.LBB0_90:                               ;   in Loop: Header=BB0_29 Depth=1
	s_or_b64 exec, exec, s[12:13]
	global_load_dwordx2 v[28:29], v27, s[2:3] offset:40
	global_load_dwordx4 v[22:25], v27, s[2:3]
	v_readfirstlane_b32 s12, v2
	v_readfirstlane_b32 s13, v3
	s_mov_b64 s[14:15], exec
	s_waitcnt vmcnt(1)
	v_readfirstlane_b32 s16, v28
	v_readfirstlane_b32 s17, v29
	s_and_b64 s[16:17], s[12:13], s[16:17]
	s_mul_i32 s18, s17, 24
	s_mul_hi_u32 s19, s16, 24
	s_mul_i32 s20, s16, 24
	s_add_i32 s18, s19, s18
	v_mov_b32_e32 v2, s18
	s_waitcnt vmcnt(0)
	v_add_co_u32_e32 v28, vcc, s20, v22
	v_addc_co_u32_e32 v29, vcc, v23, v2, vcc
	s_and_saveexec_b64 s[18:19], s[0:1]
	s_cbranch_execz .LBB0_92
; %bb.91:                               ;   in Loop: Header=BB0_29 Depth=1
	v_pk_mov_b32 v[2:3], s[14:15], s[14:15] op_sel:[0,1]
	global_store_dwordx4 v[28:29], v[2:5], off offset:8
.LBB0_92:                               ;   in Loop: Header=BB0_29 Depth=1
	s_or_b64 exec, exec, s[18:19]
	s_lshl_b64 s[14:15], s[16:17], 12
	v_mov_b32_e32 v3, s15
	v_add_co_u32_e32 v2, vcc, s14, v24
	v_addc_co_u32_e32 v3, vcc, v25, v3, vcc
	v_or_b32_e32 v24, 2, v6
	v_cmp_gt_u64_e64 vcc, s[8:9], 56
	s_lshl_b32 s14, s10, 2
	v_cndmask_b32_e32 v6, v24, v6, vcc
	s_add_i32 s14, s14, 28
	s_and_b32 s14, s14, 0x1e0
	v_and_b32_e32 v6, 0xffffff1f, v6
	v_or_b32_e32 v6, s14, v6
	v_readfirstlane_b32 s14, v2
	v_readfirstlane_b32 s15, v3
	s_nop 4
	global_store_dwordx4 v43, v[6:9], s[14:15]
	global_store_dwordx4 v43, v[10:13], s[14:15] offset:16
	global_store_dwordx4 v43, v[14:17], s[14:15] offset:32
	;; [unrolled: 1-line block ×3, first 2 shown]
	s_and_saveexec_b64 s[14:15], s[0:1]
	s_cbranch_execz .LBB0_100
; %bb.93:                               ;   in Loop: Header=BB0_29 Depth=1
	global_load_dwordx2 v[14:15], v27, s[2:3] offset:32 glc
	global_load_dwordx2 v[6:7], v27, s[2:3] offset:40
	v_mov_b32_e32 v12, s12
	v_mov_b32_e32 v13, s13
	s_waitcnt vmcnt(0)
	v_readfirstlane_b32 s16, v6
	v_readfirstlane_b32 s17, v7
	s_and_b64 s[16:17], s[16:17], s[12:13]
	s_mul_i32 s17, s17, 24
	s_mul_hi_u32 s18, s16, 24
	s_mul_i32 s16, s16, 24
	s_add_i32 s17, s18, s17
	v_mov_b32_e32 v6, s17
	v_add_co_u32_e32 v10, vcc, s16, v22
	v_addc_co_u32_e32 v11, vcc, v23, v6, vcc
	global_store_dwordx2 v[10:11], v[14:15], off
	buffer_wbl2
	s_waitcnt vmcnt(0)
	global_atomic_cmpswap_x2 v[8:9], v27, v[12:15], s[2:3] offset:32 glc
	s_waitcnt vmcnt(0)
	v_cmp_ne_u64_e32 vcc, v[8:9], v[14:15]
	s_and_saveexec_b64 s[16:17], vcc
	s_cbranch_execz .LBB0_96
; %bb.94:                               ;   in Loop: Header=BB0_29 Depth=1
	s_mov_b64 s[18:19], 0
.LBB0_95:                               ;   Parent Loop BB0_29 Depth=1
                                        ; =>  This Inner Loop Header: Depth=2
	s_sleep 1
	global_store_dwordx2 v[10:11], v[8:9], off
	v_mov_b32_e32 v6, s12
	v_mov_b32_e32 v7, s13
	buffer_wbl2
	s_waitcnt vmcnt(0)
	global_atomic_cmpswap_x2 v[6:7], v27, v[6:9], s[2:3] offset:32 glc
	s_waitcnt vmcnt(0)
	v_cmp_eq_u64_e32 vcc, v[6:7], v[8:9]
	s_or_b64 s[18:19], vcc, s[18:19]
	v_pk_mov_b32 v[8:9], v[6:7], v[6:7] op_sel:[0,1]
	s_andn2_b64 exec, exec, s[18:19]
	s_cbranch_execnz .LBB0_95
.LBB0_96:                               ;   in Loop: Header=BB0_29 Depth=1
	s_or_b64 exec, exec, s[16:17]
	global_load_dwordx2 v[6:7], v27, s[2:3] offset:16
	s_mov_b64 s[18:19], exec
	v_mbcnt_lo_u32_b32 v8, s18, 0
	v_mbcnt_hi_u32_b32 v8, s19, v8
	v_cmp_eq_u32_e32 vcc, 0, v8
	s_and_saveexec_b64 s[16:17], vcc
	s_cbranch_execz .LBB0_98
; %bb.97:                               ;   in Loop: Header=BB0_29 Depth=1
	s_bcnt1_i32_b64 s18, s[18:19]
	v_mov_b32_e32 v26, s18
	buffer_wbl2
	s_waitcnt vmcnt(0)
	global_atomic_add_x2 v[6:7], v[26:27], off offset:8
.LBB0_98:                               ;   in Loop: Header=BB0_29 Depth=1
	s_or_b64 exec, exec, s[16:17]
	s_waitcnt vmcnt(0)
	global_load_dwordx2 v[8:9], v[6:7], off offset:16
	s_waitcnt vmcnt(0)
	v_cmp_eq_u64_e32 vcc, 0, v[8:9]
	s_cbranch_vccnz .LBB0_100
; %bb.99:                               ;   in Loop: Header=BB0_29 Depth=1
	global_load_dword v26, v[6:7], off offset:24
	s_waitcnt vmcnt(0)
	v_and_b32_e32 v6, 0xffffff, v26
	v_readfirstlane_b32 m0, v6
	buffer_wbl2
	global_store_dwordx2 v[8:9], v[26:27], off
	s_sendmsg sendmsg(MSG_INTERRUPT)
.LBB0_100:                              ;   in Loop: Header=BB0_29 Depth=1
	s_or_b64 exec, exec, s[14:15]
	v_add_co_u32_e32 v2, vcc, v2, v43
	v_addc_co_u32_e32 v3, vcc, 0, v3, vcc
	s_branch .LBB0_104
.LBB0_101:                              ;   in Loop: Header=BB0_104 Depth=2
	s_or_b64 exec, exec, s[14:15]
	v_readfirstlane_b32 s14, v6
	s_cmp_eq_u32 s14, 0
	s_cbranch_scc1 .LBB0_103
; %bb.102:                              ;   in Loop: Header=BB0_104 Depth=2
	s_sleep 1
	s_cbranch_execnz .LBB0_104
	s_branch .LBB0_106
.LBB0_103:                              ;   in Loop: Header=BB0_29 Depth=1
	s_branch .LBB0_106
.LBB0_104:                              ;   Parent Loop BB0_29 Depth=1
                                        ; =>  This Inner Loop Header: Depth=2
	v_mov_b32_e32 v6, 1
	s_and_saveexec_b64 s[14:15], s[0:1]
	s_cbranch_execz .LBB0_101
; %bb.105:                              ;   in Loop: Header=BB0_104 Depth=2
	global_load_dword v6, v[28:29], off offset:20 glc
	s_waitcnt vmcnt(0)
	buffer_invl2
	buffer_wbinvl1_vol
	v_and_b32_e32 v6, 1, v6
	s_branch .LBB0_101
.LBB0_106:                              ;   in Loop: Header=BB0_29 Depth=1
	global_load_dwordx4 v[6:9], v[2:3], off
	s_and_saveexec_b64 s[14:15], s[0:1]
	s_cbranch_execz .LBB0_28
; %bb.107:                              ;   in Loop: Header=BB0_29 Depth=1
	global_load_dwordx2 v[2:3], v27, s[2:3] offset:40
	global_load_dwordx2 v[12:13], v27, s[2:3] offset:24 glc
	global_load_dwordx2 v[14:15], v27, s[2:3]
	s_waitcnt vmcnt(3)
	v_mov_b32_e32 v9, s13
	s_waitcnt vmcnt(2)
	v_add_co_u32_e32 v11, vcc, 1, v2
	v_addc_co_u32_e32 v16, vcc, 0, v3, vcc
	v_add_co_u32_e32 v8, vcc, s12, v11
	v_addc_co_u32_e32 v9, vcc, v16, v9, vcc
	v_cmp_eq_u64_e32 vcc, 0, v[8:9]
	v_cndmask_b32_e32 v9, v9, v16, vcc
	v_cndmask_b32_e32 v8, v8, v11, vcc
	v_and_b32_e32 v3, v9, v3
	v_and_b32_e32 v2, v8, v2
	v_mul_lo_u32 v3, v3, 24
	v_mul_hi_u32 v11, v2, 24
	v_mul_lo_u32 v2, v2, 24
	v_add_u32_e32 v3, v11, v3
	s_waitcnt vmcnt(0)
	v_add_co_u32_e32 v2, vcc, v14, v2
	v_addc_co_u32_e32 v3, vcc, v15, v3, vcc
	v_mov_b32_e32 v10, v12
	global_store_dwordx2 v[2:3], v[12:13], off
	v_mov_b32_e32 v11, v13
	buffer_wbl2
	s_waitcnt vmcnt(0)
	global_atomic_cmpswap_x2 v[10:11], v27, v[8:11], s[2:3] offset:24 glc
	s_waitcnt vmcnt(0)
	v_cmp_ne_u64_e32 vcc, v[10:11], v[12:13]
	s_and_b64 exec, exec, vcc
	s_cbranch_execz .LBB0_28
; %bb.108:                              ;   in Loop: Header=BB0_29 Depth=1
	s_mov_b64 s[0:1], 0
.LBB0_109:                              ;   Parent Loop BB0_29 Depth=1
                                        ; =>  This Inner Loop Header: Depth=2
	s_sleep 1
	global_store_dwordx2 v[2:3], v[10:11], off
	buffer_wbl2
	s_waitcnt vmcnt(0)
	global_atomic_cmpswap_x2 v[12:13], v27, v[8:11], s[2:3] offset:24 glc
	s_waitcnt vmcnt(0)
	v_cmp_eq_u64_e32 vcc, v[12:13], v[10:11]
	s_or_b64 s[0:1], vcc, s[0:1]
	v_pk_mov_b32 v[10:11], v[12:13], v[12:13] op_sel:[0,1]
	s_andn2_b64 exec, exec, s[0:1]
	s_cbranch_execnz .LBB0_109
	s_branch .LBB0_28
.LBB0_110:
	s_branch .LBB0_138
.LBB0_111:
	s_cbranch_execz .LBB0_138
; %bb.112:
	v_readfirstlane_b32 s0, v42
	v_cmp_eq_u32_e64 s[0:1], s0, v42
	s_waitcnt vmcnt(0)
	v_pk_mov_b32 v[8:9], 0, 0
	s_and_saveexec_b64 s[6:7], s[0:1]
	s_cbranch_execz .LBB0_118
; %bb.113:
	v_mov_b32_e32 v2, 0
	global_load_dwordx2 v[6:7], v2, s[2:3] offset:24 glc
	s_waitcnt vmcnt(0)
	buffer_invl2
	buffer_wbinvl1_vol
	global_load_dwordx2 v[4:5], v2, s[2:3] offset:40
	global_load_dwordx2 v[8:9], v2, s[2:3]
	s_waitcnt vmcnt(1)
	v_and_b32_e32 v3, v4, v6
	v_and_b32_e32 v4, v5, v7
	v_mul_lo_u32 v4, v4, 24
	v_mul_hi_u32 v5, v3, 24
	v_mul_lo_u32 v3, v3, 24
	v_add_u32_e32 v5, v5, v4
	s_waitcnt vmcnt(0)
	v_add_co_u32_e32 v4, vcc, v8, v3
	v_addc_co_u32_e32 v5, vcc, v9, v5, vcc
	global_load_dwordx2 v[4:5], v[4:5], off glc
	s_waitcnt vmcnt(0)
	global_atomic_cmpswap_x2 v[8:9], v2, v[4:7], s[2:3] offset:24 glc
	s_waitcnt vmcnt(0)
	buffer_invl2
	buffer_wbinvl1_vol
	v_cmp_ne_u64_e32 vcc, v[8:9], v[6:7]
	s_and_saveexec_b64 s[8:9], vcc
	s_cbranch_execz .LBB0_117
; %bb.114:
	s_mov_b64 s[10:11], 0
.LBB0_115:                              ; =>This Inner Loop Header: Depth=1
	s_sleep 1
	global_load_dwordx2 v[4:5], v2, s[2:3] offset:40
	global_load_dwordx2 v[10:11], v2, s[2:3]
	v_pk_mov_b32 v[6:7], v[8:9], v[8:9] op_sel:[0,1]
	s_waitcnt vmcnt(1)
	v_and_b32_e32 v4, v4, v6
	v_and_b32_e32 v3, v5, v7
	s_waitcnt vmcnt(0)
	v_mad_u64_u32 v[4:5], s[12:13], v4, 24, v[10:11]
	v_mov_b32_e32 v8, v5
	v_mad_u64_u32 v[8:9], s[12:13], v3, 24, v[8:9]
	v_mov_b32_e32 v5, v8
	global_load_dwordx2 v[4:5], v[4:5], off glc
	s_waitcnt vmcnt(0)
	global_atomic_cmpswap_x2 v[8:9], v2, v[4:7], s[2:3] offset:24 glc
	s_waitcnt vmcnt(0)
	buffer_invl2
	buffer_wbinvl1_vol
	v_cmp_eq_u64_e32 vcc, v[8:9], v[6:7]
	s_or_b64 s[10:11], vcc, s[10:11]
	s_andn2_b64 exec, exec, s[10:11]
	s_cbranch_execnz .LBB0_115
; %bb.116:
	s_or_b64 exec, exec, s[10:11]
.LBB0_117:
	s_or_b64 exec, exec, s[8:9]
.LBB0_118:
	s_or_b64 exec, exec, s[6:7]
	v_mov_b32_e32 v2, 0
	global_load_dwordx2 v[10:11], v2, s[2:3] offset:40
	global_load_dwordx4 v[4:7], v2, s[2:3]
	v_readfirstlane_b32 s6, v8
	v_readfirstlane_b32 s7, v9
	s_mov_b64 s[8:9], exec
	s_waitcnt vmcnt(1)
	v_readfirstlane_b32 s10, v10
	v_readfirstlane_b32 s11, v11
	s_and_b64 s[10:11], s[6:7], s[10:11]
	s_mul_i32 s12, s11, 24
	s_mul_hi_u32 s13, s10, 24
	s_mul_i32 s14, s10, 24
	s_add_i32 s12, s13, s12
	v_mov_b32_e32 v3, s12
	s_waitcnt vmcnt(0)
	v_add_co_u32_e32 v8, vcc, s14, v4
	v_addc_co_u32_e32 v9, vcc, v5, v3, vcc
	s_and_saveexec_b64 s[12:13], s[0:1]
	s_cbranch_execz .LBB0_120
; %bb.119:
	v_pk_mov_b32 v[10:11], s[8:9], s[8:9] op_sel:[0,1]
	v_mov_b32_e32 v12, 2
	v_mov_b32_e32 v13, 1
	global_store_dwordx4 v[8:9], v[10:13], off offset:8
.LBB0_120:
	s_or_b64 exec, exec, s[12:13]
	s_lshl_b64 s[8:9], s[10:11], 12
	v_mov_b32_e32 v3, s9
	v_add_co_u32_e32 v6, vcc, s8, v6
	s_movk_i32 s8, 0xff1d
	v_addc_co_u32_e32 v7, vcc, v7, v3, vcc
	v_and_or_b32 v0, v0, s8, 34
	s_mov_b32 s8, 0
	v_mov_b32_e32 v3, v2
	v_readfirstlane_b32 s12, v6
	v_readfirstlane_b32 s13, v7
	s_mov_b32 s9, s8
	s_mov_b32 s10, s8
	;; [unrolled: 1-line block ×3, first 2 shown]
	s_nop 1
	global_store_dwordx4 v43, v[0:3], s[12:13]
	s_nop 0
	v_pk_mov_b32 v[0:1], s[8:9], s[8:9] op_sel:[0,1]
	v_pk_mov_b32 v[2:3], s[10:11], s[10:11] op_sel:[0,1]
	global_store_dwordx4 v43, v[0:3], s[12:13] offset:16
	global_store_dwordx4 v43, v[0:3], s[12:13] offset:32
	;; [unrolled: 1-line block ×3, first 2 shown]
	s_and_saveexec_b64 s[8:9], s[0:1]
	s_cbranch_execz .LBB0_128
; %bb.121:
	v_mov_b32_e32 v6, 0
	global_load_dwordx2 v[12:13], v6, s[2:3] offset:32 glc
	global_load_dwordx2 v[0:1], v6, s[2:3] offset:40
	v_mov_b32_e32 v10, s6
	v_mov_b32_e32 v11, s7
	s_waitcnt vmcnt(0)
	v_readfirstlane_b32 s10, v0
	v_readfirstlane_b32 s11, v1
	s_and_b64 s[10:11], s[10:11], s[6:7]
	s_mul_i32 s11, s11, 24
	s_mul_hi_u32 s12, s10, 24
	s_mul_i32 s10, s10, 24
	s_add_i32 s11, s12, s11
	v_mov_b32_e32 v0, s11
	v_add_co_u32_e32 v4, vcc, s10, v4
	v_addc_co_u32_e32 v5, vcc, v5, v0, vcc
	global_store_dwordx2 v[4:5], v[12:13], off
	buffer_wbl2
	s_waitcnt vmcnt(0)
	global_atomic_cmpswap_x2 v[2:3], v6, v[10:13], s[2:3] offset:32 glc
	s_waitcnt vmcnt(0)
	v_cmp_ne_u64_e32 vcc, v[2:3], v[12:13]
	s_and_saveexec_b64 s[10:11], vcc
	s_cbranch_execz .LBB0_124
; %bb.122:
	s_mov_b64 s[12:13], 0
.LBB0_123:                              ; =>This Inner Loop Header: Depth=1
	s_sleep 1
	global_store_dwordx2 v[4:5], v[2:3], off
	v_mov_b32_e32 v0, s6
	v_mov_b32_e32 v1, s7
	buffer_wbl2
	s_waitcnt vmcnt(0)
	global_atomic_cmpswap_x2 v[0:1], v6, v[0:3], s[2:3] offset:32 glc
	s_waitcnt vmcnt(0)
	v_cmp_eq_u64_e32 vcc, v[0:1], v[2:3]
	s_or_b64 s[12:13], vcc, s[12:13]
	v_pk_mov_b32 v[2:3], v[0:1], v[0:1] op_sel:[0,1]
	s_andn2_b64 exec, exec, s[12:13]
	s_cbranch_execnz .LBB0_123
.LBB0_124:
	s_or_b64 exec, exec, s[10:11]
	v_mov_b32_e32 v3, 0
	global_load_dwordx2 v[0:1], v3, s[2:3] offset:16
	s_mov_b64 s[10:11], exec
	v_mbcnt_lo_u32_b32 v2, s10, 0
	v_mbcnt_hi_u32_b32 v2, s11, v2
	v_cmp_eq_u32_e32 vcc, 0, v2
	s_and_saveexec_b64 s[12:13], vcc
	s_cbranch_execz .LBB0_126
; %bb.125:
	s_bcnt1_i32_b64 s10, s[10:11]
	v_mov_b32_e32 v2, s10
	buffer_wbl2
	s_waitcnt vmcnt(0)
	global_atomic_add_x2 v[0:1], v[2:3], off offset:8
.LBB0_126:
	s_or_b64 exec, exec, s[12:13]
	s_waitcnt vmcnt(0)
	global_load_dwordx2 v[2:3], v[0:1], off offset:16
	s_waitcnt vmcnt(0)
	v_cmp_eq_u64_e32 vcc, 0, v[2:3]
	s_cbranch_vccnz .LBB0_128
; %bb.127:
	global_load_dword v0, v[0:1], off offset:24
	v_mov_b32_e32 v1, 0
	buffer_wbl2
	s_waitcnt vmcnt(0)
	global_store_dwordx2 v[2:3], v[0:1], off
	v_and_b32_e32 v0, 0xffffff, v0
	v_readfirstlane_b32 m0, v0
	s_sendmsg sendmsg(MSG_INTERRUPT)
.LBB0_128:
	s_or_b64 exec, exec, s[8:9]
	s_branch .LBB0_132
.LBB0_129:                              ;   in Loop: Header=BB0_132 Depth=1
	s_or_b64 exec, exec, s[8:9]
	v_readfirstlane_b32 s8, v0
	s_cmp_eq_u32 s8, 0
	s_cbranch_scc1 .LBB0_131
; %bb.130:                              ;   in Loop: Header=BB0_132 Depth=1
	s_sleep 1
	s_cbranch_execnz .LBB0_132
	s_branch .LBB0_134
.LBB0_131:
	s_branch .LBB0_134
.LBB0_132:                              ; =>This Inner Loop Header: Depth=1
	v_mov_b32_e32 v0, 1
	s_and_saveexec_b64 s[8:9], s[0:1]
	s_cbranch_execz .LBB0_129
; %bb.133:                              ;   in Loop: Header=BB0_132 Depth=1
	global_load_dword v0, v[8:9], off offset:20 glc
	s_waitcnt vmcnt(0)
	buffer_invl2
	buffer_wbinvl1_vol
	v_and_b32_e32 v0, 1, v0
	s_branch .LBB0_129
.LBB0_134:
	s_and_saveexec_b64 s[8:9], s[0:1]
	s_cbranch_execz .LBB0_137
; %bb.135:
	v_mov_b32_e32 v6, 0
	global_load_dwordx2 v[4:5], v6, s[2:3] offset:40
	global_load_dwordx2 v[8:9], v6, s[2:3] offset:24 glc
	global_load_dwordx2 v[10:11], v6, s[2:3]
	v_mov_b32_e32 v1, s7
	s_mov_b64 s[0:1], 0
	s_waitcnt vmcnt(2)
	v_add_co_u32_e32 v3, vcc, 1, v4
	v_addc_co_u32_e32 v7, vcc, 0, v5, vcc
	v_add_co_u32_e32 v0, vcc, s6, v3
	v_addc_co_u32_e32 v1, vcc, v7, v1, vcc
	v_cmp_eq_u64_e32 vcc, 0, v[0:1]
	v_cndmask_b32_e32 v1, v1, v7, vcc
	v_cndmask_b32_e32 v0, v0, v3, vcc
	v_and_b32_e32 v3, v1, v5
	v_and_b32_e32 v4, v0, v4
	v_mul_lo_u32 v3, v3, 24
	v_mul_hi_u32 v5, v4, 24
	v_mul_lo_u32 v4, v4, 24
	v_add_u32_e32 v3, v5, v3
	s_waitcnt vmcnt(0)
	v_add_co_u32_e32 v4, vcc, v10, v4
	v_addc_co_u32_e32 v5, vcc, v11, v3, vcc
	v_mov_b32_e32 v2, v8
	global_store_dwordx2 v[4:5], v[8:9], off
	v_mov_b32_e32 v3, v9
	buffer_wbl2
	s_waitcnt vmcnt(0)
	global_atomic_cmpswap_x2 v[2:3], v6, v[0:3], s[2:3] offset:24 glc
	s_waitcnt vmcnt(0)
	v_cmp_ne_u64_e32 vcc, v[2:3], v[8:9]
	s_and_b64 exec, exec, vcc
	s_cbranch_execz .LBB0_137
.LBB0_136:                              ; =>This Inner Loop Header: Depth=1
	s_sleep 1
	global_store_dwordx2 v[4:5], v[2:3], off
	buffer_wbl2
	s_waitcnt vmcnt(0)
	global_atomic_cmpswap_x2 v[8:9], v6, v[0:3], s[2:3] offset:24 glc
	s_waitcnt vmcnt(0)
	v_cmp_eq_u64_e32 vcc, v[8:9], v[2:3]
	s_or_b64 s[0:1], vcc, s[0:1]
	v_pk_mov_b32 v[2:3], v[8:9], v[8:9] op_sel:[0,1]
	s_andn2_b64 exec, exec, s[0:1]
	s_cbranch_execnz .LBB0_136
.LBB0_137:
	s_or_b64 exec, exec, s[8:9]
.LBB0_138:
	s_load_dwordx4 s[8:11], s[4:5], 0x18
	s_load_dwordx4 s[12:15], s[4:5], 0x0
	s_load_dwordx2 s[16:17], s[4:5], 0x10
	s_waitcnt lgkmcnt(0)
	s_add_i32 s18, s8, 1
	s_cmp_ge_i32 s18, s10
	s_cbranch_scc1 .LBB0_870
; %bb.139:
	s_getpc_b64 s[0:1]
	s_add_u32 s0, s0, .str.1@rel32@lo+4
	s_addc_u32 s1, s1, .str.1@rel32@hi+12
	s_cmp_lg_u64 s[0:1], 0
	s_cselect_b64 s[20:21], -1, 0
	s_getpc_b64 s[0:1]
	s_add_u32 s0, s0, .str.2@rel32@lo+4
	s_addc_u32 s1, s1, .str.2@rel32@hi+12
	s_cmp_lg_u64 s[0:1], 0
	s_mov_b32 s4, 0
	s_cselect_b64 s[22:23], -1, 0
	s_getpc_b64 s[0:1]
	s_add_u32 s0, s0, .str.5@rel32@lo+4
	s_addc_u32 s1, s1, .str.5@rel32@hi+12
	s_mov_b32 s6, s4
	s_mov_b32 s7, s4
	s_cmp_lg_u64 s[0:1], 0
	v_mov_b32_e32 v3, 0
	s_mov_b32 s5, s4
	v_pk_mov_b32 v[16:17], s[6:7], s[6:7] op_sel:[0,1]
	s_cselect_b64 s[24:25], -1, 0
	v_mov_b32_e32 v4, 33
	s_movk_i32 s8, 0xff1f
	s_movk_i32 s11, 0xff1d
	s_waitcnt vmcnt(0)
	v_mov_b32_e32 v8, 2
	v_mov_b32_e32 v9, 1
	;; [unrolled: 1-line block ×6, first 2 shown]
	v_pk_mov_b32 v[14:15], s[4:5], s[4:5] op_sel:[0,1]
	s_branch .LBB0_141
.LBB0_140:                              ;   in Loop: Header=BB0_141 Depth=1
	s_or_b64 exec, exec, s[28:29]
	s_add_i32 s18, s18, 1
	s_cmp_ge_i32 s18, s10
	s_cbranch_scc1 .LBB0_870
.LBB0_141:                              ; =>This Loop Header: Depth=1
                                        ;     Child Loop BB0_144 Depth 2
                                        ;     Child Loop BB0_152 Depth 2
	;; [unrolled: 1-line block ×9, first 2 shown]
                                        ;       Child Loop BB0_173 Depth 3
                                        ;       Child Loop BB0_180 Depth 3
	;; [unrolled: 1-line block ×11, first 2 shown]
                                        ;     Child Loop BB0_283 Depth 2
                                        ;     Child Loop BB0_291 Depth 2
	;; [unrolled: 1-line block ×13, first 2 shown]
                                        ;       Child Loop BB0_338 Depth 3
                                        ;       Child Loop BB0_345 Depth 3
	;; [unrolled: 1-line block ×11, first 2 shown]
                                        ;     Child Loop BB0_447 Depth 2
                                        ;     Child Loop BB0_538 Depth 2
	;; [unrolled: 1-line block ×6, first 2 shown]
                                        ;       Child Loop BB0_455 Depth 3
                                        ;       Child Loop BB0_462 Depth 3
	;; [unrolled: 1-line block ×11, first 2 shown]
                                        ;     Child Loop BB0_565 Depth 2
                                        ;     Child Loop BB0_573 Depth 2
	;; [unrolled: 1-line block ×13, first 2 shown]
                                        ;       Child Loop BB0_620 Depth 3
                                        ;       Child Loop BB0_627 Depth 3
                                        ;       Child Loop BB0_635 Depth 3
                                        ;       Child Loop BB0_643 Depth 3
                                        ;       Child Loop BB0_651 Depth 3
                                        ;       Child Loop BB0_659 Depth 3
                                        ;       Child Loop BB0_667 Depth 3
                                        ;       Child Loop BB0_675 Depth 3
                                        ;       Child Loop BB0_683 Depth 3
                                        ;       Child Loop BB0_692 Depth 3
                                        ;       Child Loop BB0_697 Depth 3
                                        ;     Child Loop BB0_729 Depth 2
                                        ;     Child Loop BB0_820 Depth 2
	;; [unrolled: 1-line block ×6, first 2 shown]
                                        ;       Child Loop BB0_737 Depth 3
                                        ;       Child Loop BB0_744 Depth 3
	;; [unrolled: 1-line block ×11, first 2 shown]
                                        ;     Child Loop BB0_847 Depth 2
                                        ;     Child Loop BB0_855 Depth 2
	;; [unrolled: 1-line block ×4, first 2 shown]
	s_ashr_i32 s19, s18, 31
	s_lshl_b64 s[0:1], s[18:19], 2
	s_add_u32 s26, s12, s0
	s_addc_u32 s27, s13, s1
	s_add_u32 s0, s14, s0
	s_addc_u32 s1, s15, s1
	global_load_dword v0, v3, s[26:27]
	global_load_dword v1, v3, s[0:1]
	v_readfirstlane_b32 s0, v42
	v_cmp_eq_u32_e64 s[0:1], s0, v42
	s_waitcnt vmcnt(1)
	v_readfirstlane_b32 s33, v0
	s_waitcnt vmcnt(0)
	v_readfirstlane_b32 s19, v1
	v_pk_mov_b32 v[0:1], 0, 0
	s_and_saveexec_b64 s[26:27], s[0:1]
	s_cbranch_execz .LBB0_147
; %bb.142:                              ;   in Loop: Header=BB0_141 Depth=1
	global_load_dwordx2 v[20:21], v3, s[2:3] offset:24 glc
	s_waitcnt vmcnt(0)
	buffer_invl2
	buffer_wbinvl1_vol
	global_load_dwordx2 v[0:1], v3, s[2:3] offset:40
	global_load_dwordx2 v[6:7], v3, s[2:3]
	s_waitcnt vmcnt(1)
	v_and_b32_e32 v0, v0, v20
	v_and_b32_e32 v1, v1, v21
	v_mul_lo_u32 v1, v1, 24
	v_mul_hi_u32 v2, v0, 24
	v_mul_lo_u32 v0, v0, 24
	v_add_u32_e32 v1, v2, v1
	s_waitcnt vmcnt(0)
	v_add_co_u32_e32 v0, vcc, v6, v0
	v_addc_co_u32_e32 v1, vcc, v7, v1, vcc
	global_load_dwordx2 v[18:19], v[0:1], off glc
	s_waitcnt vmcnt(0)
	global_atomic_cmpswap_x2 v[0:1], v3, v[18:21], s[2:3] offset:24 glc
	s_waitcnt vmcnt(0)
	buffer_invl2
	buffer_wbinvl1_vol
	v_cmp_ne_u64_e32 vcc, v[0:1], v[20:21]
	s_and_saveexec_b64 s[28:29], vcc
	s_cbranch_execz .LBB0_146
; %bb.143:                              ;   in Loop: Header=BB0_141 Depth=1
	s_mov_b64 s[30:31], 0
.LBB0_144:                              ;   Parent Loop BB0_141 Depth=1
                                        ; =>  This Inner Loop Header: Depth=2
	s_sleep 1
	global_load_dwordx2 v[6:7], v3, s[2:3] offset:40
	global_load_dwordx2 v[18:19], v3, s[2:3]
	v_pk_mov_b32 v[20:21], v[0:1], v[0:1] op_sel:[0,1]
	s_waitcnt vmcnt(1)
	v_and_b32_e32 v0, v6, v20
	s_waitcnt vmcnt(0)
	v_mad_u64_u32 v[0:1], s[34:35], v0, 24, v[18:19]
	v_and_b32_e32 v5, v7, v21
	v_mov_b32_e32 v2, v1
	v_mad_u64_u32 v[6:7], s[34:35], v5, 24, v[2:3]
	v_mov_b32_e32 v1, v6
	global_load_dwordx2 v[18:19], v[0:1], off glc
	s_waitcnt vmcnt(0)
	global_atomic_cmpswap_x2 v[0:1], v3, v[18:21], s[2:3] offset:24 glc
	s_waitcnt vmcnt(0)
	buffer_invl2
	buffer_wbinvl1_vol
	v_cmp_eq_u64_e32 vcc, v[0:1], v[20:21]
	s_or_b64 s[30:31], vcc, s[30:31]
	s_andn2_b64 exec, exec, s[30:31]
	s_cbranch_execnz .LBB0_144
; %bb.145:                              ;   in Loop: Header=BB0_141 Depth=1
	s_or_b64 exec, exec, s[30:31]
.LBB0_146:                              ;   in Loop: Header=BB0_141 Depth=1
	s_or_b64 exec, exec, s[28:29]
.LBB0_147:                              ;   in Loop: Header=BB0_141 Depth=1
	s_or_b64 exec, exec, s[26:27]
	global_load_dwordx2 v[6:7], v3, s[2:3] offset:40
	global_load_dwordx4 v[18:21], v3, s[2:3]
	v_readfirstlane_b32 s26, v0
	v_readfirstlane_b32 s27, v1
	s_mov_b64 s[28:29], exec
	s_waitcnt vmcnt(1)
	v_readfirstlane_b32 s30, v6
	v_readfirstlane_b32 s31, v7
	s_and_b64 s[30:31], s[26:27], s[30:31]
	s_mul_i32 s34, s31, 24
	s_mul_hi_u32 s35, s30, 24
	s_mul_i32 s36, s30, 24
	s_add_i32 s34, s35, s34
	v_mov_b32_e32 v1, s34
	s_waitcnt vmcnt(0)
	v_add_co_u32_e32 v0, vcc, s36, v18
	v_addc_co_u32_e32 v1, vcc, v19, v1, vcc
	s_and_saveexec_b64 s[34:35], s[0:1]
	s_cbranch_execz .LBB0_149
; %bb.148:                              ;   in Loop: Header=BB0_141 Depth=1
	v_pk_mov_b32 v[6:7], s[28:29], s[28:29] op_sel:[0,1]
	global_store_dwordx4 v[0:1], v[6:9], off offset:8
.LBB0_149:                              ;   in Loop: Header=BB0_141 Depth=1
	s_or_b64 exec, exec, s[34:35]
	s_lshl_b64 s[28:29], s[30:31], 12
	v_mov_b32_e32 v2, s29
	v_add_co_u32_e32 v6, vcc, s28, v20
	v_addc_co_u32_e32 v5, vcc, v21, v2, vcc
	v_readfirstlane_b32 s28, v6
	v_readfirstlane_b32 s29, v5
	s_nop 4
	global_store_dwordx4 v43, v[10:13], s[28:29]
	global_store_dwordx4 v43, v[14:17], s[28:29] offset:16
	global_store_dwordx4 v43, v[14:17], s[28:29] offset:32
	;; [unrolled: 1-line block ×3, first 2 shown]
	s_and_saveexec_b64 s[28:29], s[0:1]
	s_cbranch_execz .LBB0_157
; %bb.150:                              ;   in Loop: Header=BB0_141 Depth=1
	global_load_dwordx2 v[26:27], v3, s[2:3] offset:32 glc
	global_load_dwordx2 v[20:21], v3, s[2:3] offset:40
	v_mov_b32_e32 v24, s26
	v_mov_b32_e32 v25, s27
	s_waitcnt vmcnt(0)
	v_readfirstlane_b32 s30, v20
	v_readfirstlane_b32 s31, v21
	s_and_b64 s[30:31], s[30:31], s[26:27]
	s_mul_i32 s31, s31, 24
	s_mul_hi_u32 s34, s30, 24
	s_mul_i32 s30, s30, 24
	s_add_i32 s31, s34, s31
	v_mov_b32_e32 v2, s31
	v_add_co_u32_e32 v22, vcc, s30, v18
	v_addc_co_u32_e32 v23, vcc, v19, v2, vcc
	global_store_dwordx2 v[22:23], v[26:27], off
	buffer_wbl2
	s_waitcnt vmcnt(0)
	global_atomic_cmpswap_x2 v[20:21], v3, v[24:27], s[2:3] offset:32 glc
	s_waitcnt vmcnt(0)
	v_cmp_ne_u64_e32 vcc, v[20:21], v[26:27]
	s_and_saveexec_b64 s[30:31], vcc
	s_cbranch_execz .LBB0_153
; %bb.151:                              ;   in Loop: Header=BB0_141 Depth=1
	s_mov_b64 s[34:35], 0
.LBB0_152:                              ;   Parent Loop BB0_141 Depth=1
                                        ; =>  This Inner Loop Header: Depth=2
	s_sleep 1
	global_store_dwordx2 v[22:23], v[20:21], off
	v_mov_b32_e32 v18, s26
	v_mov_b32_e32 v19, s27
	buffer_wbl2
	s_waitcnt vmcnt(0)
	global_atomic_cmpswap_x2 v[18:19], v3, v[18:21], s[2:3] offset:32 glc
	s_waitcnt vmcnt(0)
	v_cmp_eq_u64_e32 vcc, v[18:19], v[20:21]
	s_or_b64 s[34:35], vcc, s[34:35]
	v_pk_mov_b32 v[20:21], v[18:19], v[18:19] op_sel:[0,1]
	s_andn2_b64 exec, exec, s[34:35]
	s_cbranch_execnz .LBB0_152
.LBB0_153:                              ;   in Loop: Header=BB0_141 Depth=1
	s_or_b64 exec, exec, s[30:31]
	global_load_dwordx2 v[18:19], v3, s[2:3] offset:16
	s_mov_b64 s[34:35], exec
	v_mbcnt_lo_u32_b32 v2, s34, 0
	v_mbcnt_hi_u32_b32 v2, s35, v2
	v_cmp_eq_u32_e32 vcc, 0, v2
	s_and_saveexec_b64 s[30:31], vcc
	s_cbranch_execz .LBB0_155
; %bb.154:                              ;   in Loop: Header=BB0_141 Depth=1
	s_bcnt1_i32_b64 s34, s[34:35]
	v_mov_b32_e32 v2, s34
	buffer_wbl2
	s_waitcnt vmcnt(0)
	global_atomic_add_x2 v[18:19], v[2:3], off offset:8
.LBB0_155:                              ;   in Loop: Header=BB0_141 Depth=1
	s_or_b64 exec, exec, s[30:31]
	s_waitcnt vmcnt(0)
	global_load_dwordx2 v[20:21], v[18:19], off offset:16
	s_waitcnt vmcnt(0)
	v_cmp_eq_u64_e32 vcc, 0, v[20:21]
	s_cbranch_vccnz .LBB0_157
; %bb.156:                              ;   in Loop: Header=BB0_141 Depth=1
	global_load_dword v2, v[18:19], off offset:24
	buffer_wbl2
	s_waitcnt vmcnt(0)
	global_store_dwordx2 v[20:21], v[2:3], off
	v_and_b32_e32 v2, 0xffffff, v2
	v_readfirstlane_b32 m0, v2
	s_sendmsg sendmsg(MSG_INTERRUPT)
.LBB0_157:                              ;   in Loop: Header=BB0_141 Depth=1
	s_or_b64 exec, exec, s[28:29]
	v_add_co_u32_e32 v6, vcc, v6, v43
	v_addc_co_u32_e32 v7, vcc, 0, v5, vcc
	s_branch .LBB0_161
.LBB0_158:                              ;   in Loop: Header=BB0_161 Depth=2
	s_or_b64 exec, exec, s[28:29]
	v_readfirstlane_b32 s28, v2
	s_cmp_eq_u32 s28, 0
	s_cbranch_scc1 .LBB0_160
; %bb.159:                              ;   in Loop: Header=BB0_161 Depth=2
	s_sleep 1
	s_cbranch_execnz .LBB0_161
	s_branch .LBB0_163
.LBB0_160:                              ;   in Loop: Header=BB0_141 Depth=1
	s_branch .LBB0_163
.LBB0_161:                              ;   Parent Loop BB0_141 Depth=1
                                        ; =>  This Inner Loop Header: Depth=2
	v_mov_b32_e32 v2, 1
	s_and_saveexec_b64 s[28:29], s[0:1]
	s_cbranch_execz .LBB0_158
; %bb.162:                              ;   in Loop: Header=BB0_161 Depth=2
	global_load_dword v2, v[0:1], off offset:20 glc
	s_waitcnt vmcnt(0)
	buffer_invl2
	buffer_wbinvl1_vol
	v_and_b32_e32 v2, 1, v2
	s_branch .LBB0_158
.LBB0_163:                              ;   in Loop: Header=BB0_141 Depth=1
	global_load_dwordx2 v[0:1], v[6:7], off
	s_and_saveexec_b64 s[28:29], s[0:1]
	s_cbranch_execz .LBB0_167
; %bb.164:                              ;   in Loop: Header=BB0_141 Depth=1
	global_load_dwordx2 v[6:7], v3, s[2:3] offset:40
	global_load_dwordx2 v[22:23], v3, s[2:3] offset:24 glc
	global_load_dwordx2 v[24:25], v3, s[2:3]
	v_mov_b32_e32 v2, s27
	s_waitcnt vmcnt(2)
	v_add_co_u32_e32 v5, vcc, 1, v6
	v_addc_co_u32_e32 v21, vcc, 0, v7, vcc
	v_add_co_u32_e32 v18, vcc, s26, v5
	v_addc_co_u32_e32 v19, vcc, v21, v2, vcc
	v_cmp_eq_u64_e32 vcc, 0, v[18:19]
	v_cndmask_b32_e32 v19, v19, v21, vcc
	v_cndmask_b32_e32 v18, v18, v5, vcc
	v_and_b32_e32 v2, v19, v7
	v_and_b32_e32 v5, v18, v6
	v_mul_lo_u32 v2, v2, 24
	v_mul_hi_u32 v6, v5, 24
	v_mul_lo_u32 v5, v5, 24
	v_add_u32_e32 v2, v6, v2
	s_waitcnt vmcnt(0)
	v_add_co_u32_e32 v6, vcc, v24, v5
	v_addc_co_u32_e32 v7, vcc, v25, v2, vcc
	v_mov_b32_e32 v20, v22
	global_store_dwordx2 v[6:7], v[22:23], off
	v_mov_b32_e32 v21, v23
	buffer_wbl2
	s_waitcnt vmcnt(0)
	global_atomic_cmpswap_x2 v[20:21], v3, v[18:21], s[2:3] offset:24 glc
	s_waitcnt vmcnt(0)
	v_cmp_ne_u64_e32 vcc, v[20:21], v[22:23]
	s_and_b64 exec, exec, vcc
	s_cbranch_execz .LBB0_167
; %bb.165:                              ;   in Loop: Header=BB0_141 Depth=1
	s_mov_b64 s[0:1], 0
.LBB0_166:                              ;   Parent Loop BB0_141 Depth=1
                                        ; =>  This Inner Loop Header: Depth=2
	s_sleep 1
	global_store_dwordx2 v[6:7], v[20:21], off
	buffer_wbl2
	s_waitcnt vmcnt(0)
	global_atomic_cmpswap_x2 v[22:23], v3, v[18:21], s[2:3] offset:24 glc
	s_waitcnt vmcnt(0)
	v_cmp_eq_u64_e32 vcc, v[22:23], v[20:21]
	s_or_b64 s[0:1], vcc, s[0:1]
	v_pk_mov_b32 v[20:21], v[22:23], v[22:23] op_sel:[0,1]
	s_andn2_b64 exec, exec, s[0:1]
	s_cbranch_execnz .LBB0_166
.LBB0_167:                              ;   in Loop: Header=BB0_141 Depth=1
	s_or_b64 exec, exec, s[28:29]
	s_and_b64 vcc, exec, s[20:21]
	s_cbranch_vccz .LBB0_252
; %bb.168:                              ;   in Loop: Header=BB0_141 Depth=1
	s_waitcnt vmcnt(0)
	v_and_b32_e32 v38, 2, v0
	v_and_b32_e32 v18, -3, v0
	v_mov_b32_e32 v19, v1
	s_mov_b64 s[28:29], 4
	s_getpc_b64 s[26:27]
	s_add_u32 s26, s26, .str.1@rel32@lo+4
	s_addc_u32 s27, s27, .str.1@rel32@hi+12
	s_branch .LBB0_170
.LBB0_169:                              ;   in Loop: Header=BB0_170 Depth=2
	s_or_b64 exec, exec, s[36:37]
	s_sub_u32 s28, s28, s30
	s_subb_u32 s29, s29, s31
	s_add_u32 s26, s26, s30
	s_addc_u32 s27, s27, s31
	s_cmp_lg_u64 s[28:29], 0
	s_cbranch_scc0 .LBB0_251
.LBB0_170:                              ;   Parent Loop BB0_141 Depth=1
                                        ; =>  This Loop Header: Depth=2
                                        ;       Child Loop BB0_173 Depth 3
                                        ;       Child Loop BB0_180 Depth 3
	;; [unrolled: 1-line block ×11, first 2 shown]
	v_cmp_lt_u64_e64 s[0:1], s[28:29], 56
	s_and_b64 s[0:1], s[0:1], exec
	v_cmp_gt_u64_e64 s[0:1], s[28:29], 7
	s_cselect_b32 s31, s29, 0
	s_cselect_b32 s30, s28, 56
	s_and_b64 vcc, exec, s[0:1]
	s_cbranch_vccnz .LBB0_175
; %bb.171:                              ;   in Loop: Header=BB0_170 Depth=2
	s_mov_b64 s[0:1], 0
	s_cmp_eq_u64 s[28:29], 0
	s_waitcnt vmcnt(0)
	v_pk_mov_b32 v[20:21], 0, 0
	s_cbranch_scc1 .LBB0_174
; %bb.172:                              ;   in Loop: Header=BB0_170 Depth=2
	s_lshl_b64 s[34:35], s[30:31], 3
	s_mov_b64 s[36:37], 0
	v_pk_mov_b32 v[20:21], 0, 0
	s_mov_b64 s[38:39], s[26:27]
.LBB0_173:                              ;   Parent Loop BB0_141 Depth=1
                                        ;     Parent Loop BB0_170 Depth=2
                                        ; =>    This Inner Loop Header: Depth=3
	global_load_ubyte v2, v3, s[38:39]
	s_waitcnt vmcnt(0)
	v_and_b32_e32 v2, 0xffff, v2
	v_lshlrev_b64 v[6:7], s36, v[2:3]
	s_add_u32 s36, s36, 8
	s_addc_u32 s37, s37, 0
	s_add_u32 s38, s38, 1
	s_addc_u32 s39, s39, 0
	v_or_b32_e32 v20, v6, v20
	s_cmp_lg_u32 s34, s36
	v_or_b32_e32 v21, v7, v21
	s_cbranch_scc1 .LBB0_173
.LBB0_174:                              ;   in Loop: Header=BB0_170 Depth=2
	s_mov_b32 s38, 0
	s_andn2_b64 vcc, exec, s[0:1]
	s_mov_b64 s[0:1], s[26:27]
	s_cbranch_vccz .LBB0_176
	s_branch .LBB0_177
.LBB0_175:                              ;   in Loop: Header=BB0_170 Depth=2
                                        ; implicit-def: $vgpr20_vgpr21
                                        ; implicit-def: $sgpr38
	s_mov_b64 s[0:1], s[26:27]
.LBB0_176:                              ;   in Loop: Header=BB0_170 Depth=2
	global_load_dwordx2 v[20:21], v3, s[26:27]
	s_add_i32 s38, s30, -8
	s_add_u32 s0, s26, 8
	s_addc_u32 s1, s27, 0
.LBB0_177:                              ;   in Loop: Header=BB0_170 Depth=2
	s_cmp_gt_u32 s38, 7
	s_cbranch_scc1 .LBB0_181
; %bb.178:                              ;   in Loop: Header=BB0_170 Depth=2
	s_cmp_eq_u32 s38, 0
	s_cbranch_scc1 .LBB0_182
; %bb.179:                              ;   in Loop: Header=BB0_170 Depth=2
	s_mov_b64 s[34:35], 0
	v_pk_mov_b32 v[22:23], 0, 0
	s_mov_b64 s[36:37], 0
.LBB0_180:                              ;   Parent Loop BB0_141 Depth=1
                                        ;     Parent Loop BB0_170 Depth=2
                                        ; =>    This Inner Loop Header: Depth=3
	s_add_u32 s40, s0, s36
	s_addc_u32 s41, s1, s37
	global_load_ubyte v2, v3, s[40:41]
	s_add_u32 s36, s36, 1
	s_addc_u32 s37, s37, 0
	s_waitcnt vmcnt(0)
	v_and_b32_e32 v2, 0xffff, v2
	v_lshlrev_b64 v[6:7], s34, v[2:3]
	s_add_u32 s34, s34, 8
	s_addc_u32 s35, s35, 0
	v_or_b32_e32 v22, v6, v22
	s_cmp_lg_u32 s38, s36
	v_or_b32_e32 v23, v7, v23
	s_cbranch_scc1 .LBB0_180
	s_branch .LBB0_183
.LBB0_181:                              ;   in Loop: Header=BB0_170 Depth=2
                                        ; implicit-def: $vgpr22_vgpr23
                                        ; implicit-def: $sgpr39
	s_branch .LBB0_184
.LBB0_182:                              ;   in Loop: Header=BB0_170 Depth=2
	v_pk_mov_b32 v[22:23], 0, 0
.LBB0_183:                              ;   in Loop: Header=BB0_170 Depth=2
	s_mov_b32 s39, 0
	s_cbranch_execnz .LBB0_185
.LBB0_184:                              ;   in Loop: Header=BB0_170 Depth=2
	global_load_dwordx2 v[22:23], v3, s[0:1]
	s_add_i32 s39, s38, -8
	s_add_u32 s0, s0, 8
	s_addc_u32 s1, s1, 0
.LBB0_185:                              ;   in Loop: Header=BB0_170 Depth=2
	s_cmp_gt_u32 s39, 7
	s_cbranch_scc1 .LBB0_189
; %bb.186:                              ;   in Loop: Header=BB0_170 Depth=2
	s_cmp_eq_u32 s39, 0
	s_cbranch_scc1 .LBB0_190
; %bb.187:                              ;   in Loop: Header=BB0_170 Depth=2
	s_mov_b64 s[34:35], 0
	v_pk_mov_b32 v[24:25], 0, 0
	s_mov_b64 s[36:37], 0
.LBB0_188:                              ;   Parent Loop BB0_141 Depth=1
                                        ;     Parent Loop BB0_170 Depth=2
                                        ; =>    This Inner Loop Header: Depth=3
	s_add_u32 s40, s0, s36
	s_addc_u32 s41, s1, s37
	global_load_ubyte v2, v3, s[40:41]
	s_add_u32 s36, s36, 1
	s_addc_u32 s37, s37, 0
	s_waitcnt vmcnt(0)
	v_and_b32_e32 v2, 0xffff, v2
	v_lshlrev_b64 v[6:7], s34, v[2:3]
	s_add_u32 s34, s34, 8
	s_addc_u32 s35, s35, 0
	v_or_b32_e32 v24, v6, v24
	s_cmp_lg_u32 s39, s36
	v_or_b32_e32 v25, v7, v25
	s_cbranch_scc1 .LBB0_188
	s_branch .LBB0_191
.LBB0_189:                              ;   in Loop: Header=BB0_170 Depth=2
                                        ; implicit-def: $sgpr38
	s_branch .LBB0_192
.LBB0_190:                              ;   in Loop: Header=BB0_170 Depth=2
	v_pk_mov_b32 v[24:25], 0, 0
.LBB0_191:                              ;   in Loop: Header=BB0_170 Depth=2
	s_mov_b32 s38, 0
	s_cbranch_execnz .LBB0_193
.LBB0_192:                              ;   in Loop: Header=BB0_170 Depth=2
	global_load_dwordx2 v[24:25], v3, s[0:1]
	s_add_i32 s38, s39, -8
	s_add_u32 s0, s0, 8
	s_addc_u32 s1, s1, 0
.LBB0_193:                              ;   in Loop: Header=BB0_170 Depth=2
	s_cmp_gt_u32 s38, 7
	s_cbranch_scc1 .LBB0_197
; %bb.194:                              ;   in Loop: Header=BB0_170 Depth=2
	s_cmp_eq_u32 s38, 0
	s_cbranch_scc1 .LBB0_198
; %bb.195:                              ;   in Loop: Header=BB0_170 Depth=2
	s_mov_b64 s[34:35], 0
	v_pk_mov_b32 v[26:27], 0, 0
	s_mov_b64 s[36:37], 0
.LBB0_196:                              ;   Parent Loop BB0_141 Depth=1
                                        ;     Parent Loop BB0_170 Depth=2
                                        ; =>    This Inner Loop Header: Depth=3
	s_add_u32 s40, s0, s36
	s_addc_u32 s41, s1, s37
	global_load_ubyte v2, v3, s[40:41]
	s_add_u32 s36, s36, 1
	s_addc_u32 s37, s37, 0
	s_waitcnt vmcnt(0)
	v_and_b32_e32 v2, 0xffff, v2
	v_lshlrev_b64 v[6:7], s34, v[2:3]
	s_add_u32 s34, s34, 8
	s_addc_u32 s35, s35, 0
	v_or_b32_e32 v26, v6, v26
	s_cmp_lg_u32 s38, s36
	v_or_b32_e32 v27, v7, v27
	s_cbranch_scc1 .LBB0_196
	s_branch .LBB0_199
.LBB0_197:                              ;   in Loop: Header=BB0_170 Depth=2
                                        ; implicit-def: $vgpr26_vgpr27
                                        ; implicit-def: $sgpr39
	s_branch .LBB0_200
.LBB0_198:                              ;   in Loop: Header=BB0_170 Depth=2
	v_pk_mov_b32 v[26:27], 0, 0
.LBB0_199:                              ;   in Loop: Header=BB0_170 Depth=2
	s_mov_b32 s39, 0
	s_cbranch_execnz .LBB0_201
.LBB0_200:                              ;   in Loop: Header=BB0_170 Depth=2
	global_load_dwordx2 v[26:27], v3, s[0:1]
	s_add_i32 s39, s38, -8
	s_add_u32 s0, s0, 8
	s_addc_u32 s1, s1, 0
.LBB0_201:                              ;   in Loop: Header=BB0_170 Depth=2
	s_cmp_gt_u32 s39, 7
	s_cbranch_scc1 .LBB0_205
; %bb.202:                              ;   in Loop: Header=BB0_170 Depth=2
	s_cmp_eq_u32 s39, 0
	s_cbranch_scc1 .LBB0_206
; %bb.203:                              ;   in Loop: Header=BB0_170 Depth=2
	s_mov_b64 s[34:35], 0
	v_pk_mov_b32 v[28:29], 0, 0
	s_mov_b64 s[36:37], 0
.LBB0_204:                              ;   Parent Loop BB0_141 Depth=1
                                        ;     Parent Loop BB0_170 Depth=2
                                        ; =>    This Inner Loop Header: Depth=3
	s_add_u32 s40, s0, s36
	s_addc_u32 s41, s1, s37
	global_load_ubyte v2, v3, s[40:41]
	s_add_u32 s36, s36, 1
	s_addc_u32 s37, s37, 0
	s_waitcnt vmcnt(0)
	v_and_b32_e32 v2, 0xffff, v2
	v_lshlrev_b64 v[6:7], s34, v[2:3]
	s_add_u32 s34, s34, 8
	s_addc_u32 s35, s35, 0
	v_or_b32_e32 v28, v6, v28
	s_cmp_lg_u32 s39, s36
	v_or_b32_e32 v29, v7, v29
	s_cbranch_scc1 .LBB0_204
	s_branch .LBB0_207
.LBB0_205:                              ;   in Loop: Header=BB0_170 Depth=2
                                        ; implicit-def: $sgpr38
	s_branch .LBB0_208
.LBB0_206:                              ;   in Loop: Header=BB0_170 Depth=2
	v_pk_mov_b32 v[28:29], 0, 0
.LBB0_207:                              ;   in Loop: Header=BB0_170 Depth=2
	s_mov_b32 s38, 0
	s_cbranch_execnz .LBB0_209
.LBB0_208:                              ;   in Loop: Header=BB0_170 Depth=2
	global_load_dwordx2 v[28:29], v3, s[0:1]
	s_add_i32 s38, s39, -8
	s_add_u32 s0, s0, 8
	s_addc_u32 s1, s1, 0
.LBB0_209:                              ;   in Loop: Header=BB0_170 Depth=2
	s_cmp_gt_u32 s38, 7
	s_cbranch_scc1 .LBB0_213
; %bb.210:                              ;   in Loop: Header=BB0_170 Depth=2
	s_cmp_eq_u32 s38, 0
	s_cbranch_scc1 .LBB0_214
; %bb.211:                              ;   in Loop: Header=BB0_170 Depth=2
	s_mov_b64 s[34:35], 0
	v_pk_mov_b32 v[30:31], 0, 0
	s_mov_b64 s[36:37], 0
.LBB0_212:                              ;   Parent Loop BB0_141 Depth=1
                                        ;     Parent Loop BB0_170 Depth=2
                                        ; =>    This Inner Loop Header: Depth=3
	s_add_u32 s40, s0, s36
	s_addc_u32 s41, s1, s37
	global_load_ubyte v2, v3, s[40:41]
	s_add_u32 s36, s36, 1
	s_addc_u32 s37, s37, 0
	s_waitcnt vmcnt(0)
	v_and_b32_e32 v2, 0xffff, v2
	v_lshlrev_b64 v[6:7], s34, v[2:3]
	s_add_u32 s34, s34, 8
	s_addc_u32 s35, s35, 0
	v_or_b32_e32 v30, v6, v30
	s_cmp_lg_u32 s38, s36
	v_or_b32_e32 v31, v7, v31
	s_cbranch_scc1 .LBB0_212
	s_branch .LBB0_215
.LBB0_213:                              ;   in Loop: Header=BB0_170 Depth=2
                                        ; implicit-def: $vgpr30_vgpr31
                                        ; implicit-def: $sgpr39
	s_branch .LBB0_216
.LBB0_214:                              ;   in Loop: Header=BB0_170 Depth=2
	v_pk_mov_b32 v[30:31], 0, 0
.LBB0_215:                              ;   in Loop: Header=BB0_170 Depth=2
	s_mov_b32 s39, 0
	s_cbranch_execnz .LBB0_217
.LBB0_216:                              ;   in Loop: Header=BB0_170 Depth=2
	global_load_dwordx2 v[30:31], v3, s[0:1]
	s_add_i32 s39, s38, -8
	s_add_u32 s0, s0, 8
	s_addc_u32 s1, s1, 0
.LBB0_217:                              ;   in Loop: Header=BB0_170 Depth=2
	s_cmp_gt_u32 s39, 7
	s_cbranch_scc1 .LBB0_221
; %bb.218:                              ;   in Loop: Header=BB0_170 Depth=2
	s_cmp_eq_u32 s39, 0
	s_cbranch_scc1 .LBB0_222
; %bb.219:                              ;   in Loop: Header=BB0_170 Depth=2
	s_mov_b64 s[34:35], 0
	v_pk_mov_b32 v[32:33], 0, 0
	s_mov_b64 s[36:37], s[0:1]
.LBB0_220:                              ;   Parent Loop BB0_141 Depth=1
                                        ;     Parent Loop BB0_170 Depth=2
                                        ; =>    This Inner Loop Header: Depth=3
	global_load_ubyte v2, v3, s[36:37]
	s_add_i32 s39, s39, -1
	s_waitcnt vmcnt(0)
	v_and_b32_e32 v2, 0xffff, v2
	v_lshlrev_b64 v[6:7], s34, v[2:3]
	s_add_u32 s34, s34, 8
	s_addc_u32 s35, s35, 0
	s_add_u32 s36, s36, 1
	s_addc_u32 s37, s37, 0
	v_or_b32_e32 v32, v6, v32
	s_cmp_lg_u32 s39, 0
	v_or_b32_e32 v33, v7, v33
	s_cbranch_scc1 .LBB0_220
	s_branch .LBB0_223
.LBB0_221:                              ;   in Loop: Header=BB0_170 Depth=2
	s_branch .LBB0_224
.LBB0_222:                              ;   in Loop: Header=BB0_170 Depth=2
	v_pk_mov_b32 v[32:33], 0, 0
.LBB0_223:                              ;   in Loop: Header=BB0_170 Depth=2
	s_cbranch_execnz .LBB0_225
.LBB0_224:                              ;   in Loop: Header=BB0_170 Depth=2
	global_load_dwordx2 v[32:33], v3, s[0:1]
.LBB0_225:                              ;   in Loop: Header=BB0_170 Depth=2
	v_readfirstlane_b32 s0, v42
	v_cmp_eq_u32_e64 s[0:1], s0, v42
	v_pk_mov_b32 v[6:7], 0, 0
	s_and_saveexec_b64 s[34:35], s[0:1]
	s_cbranch_execz .LBB0_231
; %bb.226:                              ;   in Loop: Header=BB0_170 Depth=2
	global_load_dwordx2 v[36:37], v3, s[2:3] offset:24 glc
	s_waitcnt vmcnt(0)
	buffer_invl2
	buffer_wbinvl1_vol
	global_load_dwordx2 v[6:7], v3, s[2:3] offset:40
	global_load_dwordx2 v[34:35], v3, s[2:3]
	s_waitcnt vmcnt(1)
	v_and_b32_e32 v2, v6, v36
	v_and_b32_e32 v5, v7, v37
	v_mul_lo_u32 v5, v5, 24
	v_mul_hi_u32 v6, v2, 24
	v_mul_lo_u32 v2, v2, 24
	v_add_u32_e32 v5, v6, v5
	s_waitcnt vmcnt(0)
	v_add_co_u32_e32 v6, vcc, v34, v2
	v_addc_co_u32_e32 v7, vcc, v35, v5, vcc
	global_load_dwordx2 v[34:35], v[6:7], off glc
	s_waitcnt vmcnt(0)
	global_atomic_cmpswap_x2 v[6:7], v3, v[34:37], s[2:3] offset:24 glc
	s_waitcnt vmcnt(0)
	buffer_invl2
	buffer_wbinvl1_vol
	v_cmp_ne_u64_e32 vcc, v[6:7], v[36:37]
	s_and_saveexec_b64 s[36:37], vcc
	s_cbranch_execz .LBB0_230
; %bb.227:                              ;   in Loop: Header=BB0_170 Depth=2
	s_mov_b64 s[38:39], 0
.LBB0_228:                              ;   Parent Loop BB0_141 Depth=1
                                        ;     Parent Loop BB0_170 Depth=2
                                        ; =>    This Inner Loop Header: Depth=3
	s_sleep 1
	global_load_dwordx2 v[34:35], v3, s[2:3] offset:40
	global_load_dwordx2 v[40:41], v3, s[2:3]
	v_pk_mov_b32 v[36:37], v[6:7], v[6:7] op_sel:[0,1]
	s_waitcnt vmcnt(1)
	v_and_b32_e32 v2, v34, v36
	s_waitcnt vmcnt(0)
	v_mad_u64_u32 v[6:7], s[40:41], v2, 24, v[40:41]
	v_and_b32_e32 v5, v35, v37
	v_mov_b32_e32 v2, v7
	v_mad_u64_u32 v[34:35], s[40:41], v5, 24, v[2:3]
	v_mov_b32_e32 v7, v34
	global_load_dwordx2 v[34:35], v[6:7], off glc
	s_waitcnt vmcnt(0)
	global_atomic_cmpswap_x2 v[6:7], v3, v[34:37], s[2:3] offset:24 glc
	s_waitcnt vmcnt(0)
	buffer_invl2
	buffer_wbinvl1_vol
	v_cmp_eq_u64_e32 vcc, v[6:7], v[36:37]
	s_or_b64 s[38:39], vcc, s[38:39]
	s_andn2_b64 exec, exec, s[38:39]
	s_cbranch_execnz .LBB0_228
; %bb.229:                              ;   in Loop: Header=BB0_170 Depth=2
	s_or_b64 exec, exec, s[38:39]
.LBB0_230:                              ;   in Loop: Header=BB0_170 Depth=2
	s_or_b64 exec, exec, s[36:37]
.LBB0_231:                              ;   in Loop: Header=BB0_170 Depth=2
	s_or_b64 exec, exec, s[34:35]
	global_load_dwordx2 v[40:41], v3, s[2:3] offset:40
	global_load_dwordx4 v[34:37], v3, s[2:3]
	v_readfirstlane_b32 s34, v6
	v_readfirstlane_b32 s35, v7
	s_mov_b64 s[36:37], exec
	s_waitcnt vmcnt(1)
	v_readfirstlane_b32 s38, v40
	v_readfirstlane_b32 s39, v41
	s_and_b64 s[38:39], s[34:35], s[38:39]
	s_mul_i32 s40, s39, 24
	s_mul_hi_u32 s41, s38, 24
	s_mul_i32 s42, s38, 24
	s_add_i32 s40, s41, s40
	v_mov_b32_e32 v2, s40
	s_waitcnt vmcnt(0)
	v_add_co_u32_e32 v40, vcc, s42, v34
	v_addc_co_u32_e32 v41, vcc, v35, v2, vcc
	s_and_saveexec_b64 s[40:41], s[0:1]
	s_cbranch_execz .LBB0_233
; %bb.232:                              ;   in Loop: Header=BB0_170 Depth=2
	v_pk_mov_b32 v[6:7], s[36:37], s[36:37] op_sel:[0,1]
	global_store_dwordx4 v[40:41], v[6:9], off offset:8
.LBB0_233:                              ;   in Loop: Header=BB0_170 Depth=2
	s_or_b64 exec, exec, s[40:41]
	s_lshl_b64 s[36:37], s[38:39], 12
	v_mov_b32_e32 v2, s37
	v_add_co_u32_e32 v6, vcc, s36, v36
	v_addc_co_u32_e32 v5, vcc, v37, v2, vcc
	v_or_b32_e32 v2, 0, v19
	v_or_b32_e32 v7, v18, v38
	v_cmp_gt_u64_e64 vcc, s[28:29], 56
	s_lshl_b32 s36, s30, 2
	v_cndmask_b32_e32 v19, v2, v19, vcc
	v_cndmask_b32_e32 v2, v7, v18, vcc
	s_add_i32 s36, s36, 28
	s_and_b32 s36, s36, 0x1e0
	v_and_b32_e32 v2, 0xffffff1f, v2
	v_or_b32_e32 v18, s36, v2
	v_readfirstlane_b32 s36, v6
	v_readfirstlane_b32 s37, v5
	s_nop 4
	global_store_dwordx4 v43, v[18:21], s[36:37]
	global_store_dwordx4 v43, v[22:25], s[36:37] offset:16
	global_store_dwordx4 v43, v[26:29], s[36:37] offset:32
	;; [unrolled: 1-line block ×3, first 2 shown]
	s_and_saveexec_b64 s[36:37], s[0:1]
	s_cbranch_execz .LBB0_241
; %bb.234:                              ;   in Loop: Header=BB0_170 Depth=2
	global_load_dwordx2 v[26:27], v3, s[2:3] offset:32 glc
	global_load_dwordx2 v[18:19], v3, s[2:3] offset:40
	v_mov_b32_e32 v24, s34
	v_mov_b32_e32 v25, s35
	s_waitcnt vmcnt(0)
	v_readfirstlane_b32 s38, v18
	v_readfirstlane_b32 s39, v19
	s_and_b64 s[38:39], s[38:39], s[34:35]
	s_mul_i32 s39, s39, 24
	s_mul_hi_u32 s40, s38, 24
	s_mul_i32 s38, s38, 24
	s_add_i32 s39, s40, s39
	v_mov_b32_e32 v2, s39
	v_add_co_u32_e32 v22, vcc, s38, v34
	v_addc_co_u32_e32 v23, vcc, v35, v2, vcc
	global_store_dwordx2 v[22:23], v[26:27], off
	buffer_wbl2
	s_waitcnt vmcnt(0)
	global_atomic_cmpswap_x2 v[20:21], v3, v[24:27], s[2:3] offset:32 glc
	s_waitcnt vmcnt(0)
	v_cmp_ne_u64_e32 vcc, v[20:21], v[26:27]
	s_and_saveexec_b64 s[38:39], vcc
	s_cbranch_execz .LBB0_237
; %bb.235:                              ;   in Loop: Header=BB0_170 Depth=2
	s_mov_b64 s[40:41], 0
.LBB0_236:                              ;   Parent Loop BB0_141 Depth=1
                                        ;     Parent Loop BB0_170 Depth=2
                                        ; =>    This Inner Loop Header: Depth=3
	s_sleep 1
	global_store_dwordx2 v[22:23], v[20:21], off
	v_mov_b32_e32 v18, s34
	v_mov_b32_e32 v19, s35
	buffer_wbl2
	s_waitcnt vmcnt(0)
	global_atomic_cmpswap_x2 v[18:19], v3, v[18:21], s[2:3] offset:32 glc
	s_waitcnt vmcnt(0)
	v_cmp_eq_u64_e32 vcc, v[18:19], v[20:21]
	s_or_b64 s[40:41], vcc, s[40:41]
	v_pk_mov_b32 v[20:21], v[18:19], v[18:19] op_sel:[0,1]
	s_andn2_b64 exec, exec, s[40:41]
	s_cbranch_execnz .LBB0_236
.LBB0_237:                              ;   in Loop: Header=BB0_170 Depth=2
	s_or_b64 exec, exec, s[38:39]
	global_load_dwordx2 v[18:19], v3, s[2:3] offset:16
	s_mov_b64 s[40:41], exec
	v_mbcnt_lo_u32_b32 v2, s40, 0
	v_mbcnt_hi_u32_b32 v2, s41, v2
	v_cmp_eq_u32_e32 vcc, 0, v2
	s_and_saveexec_b64 s[38:39], vcc
	s_cbranch_execz .LBB0_239
; %bb.238:                              ;   in Loop: Header=BB0_170 Depth=2
	s_bcnt1_i32_b64 s40, s[40:41]
	v_mov_b32_e32 v2, s40
	buffer_wbl2
	s_waitcnt vmcnt(0)
	global_atomic_add_x2 v[18:19], v[2:3], off offset:8
.LBB0_239:                              ;   in Loop: Header=BB0_170 Depth=2
	s_or_b64 exec, exec, s[38:39]
	s_waitcnt vmcnt(0)
	global_load_dwordx2 v[20:21], v[18:19], off offset:16
	s_waitcnt vmcnt(0)
	v_cmp_eq_u64_e32 vcc, 0, v[20:21]
	s_cbranch_vccnz .LBB0_241
; %bb.240:                              ;   in Loop: Header=BB0_170 Depth=2
	global_load_dword v2, v[18:19], off offset:24
	buffer_wbl2
	s_waitcnt vmcnt(0)
	global_store_dwordx2 v[20:21], v[2:3], off
	v_and_b32_e32 v2, 0xffffff, v2
	v_readfirstlane_b32 m0, v2
	s_sendmsg sendmsg(MSG_INTERRUPT)
.LBB0_241:                              ;   in Loop: Header=BB0_170 Depth=2
	s_or_b64 exec, exec, s[36:37]
	v_add_co_u32_e32 v6, vcc, v6, v43
	v_addc_co_u32_e32 v7, vcc, 0, v5, vcc
	s_branch .LBB0_245
.LBB0_242:                              ;   in Loop: Header=BB0_245 Depth=3
	s_or_b64 exec, exec, s[36:37]
	v_readfirstlane_b32 s36, v2
	s_cmp_eq_u32 s36, 0
	s_cbranch_scc1 .LBB0_244
; %bb.243:                              ;   in Loop: Header=BB0_245 Depth=3
	s_sleep 1
	s_cbranch_execnz .LBB0_245
	s_branch .LBB0_247
.LBB0_244:                              ;   in Loop: Header=BB0_170 Depth=2
	s_branch .LBB0_247
.LBB0_245:                              ;   Parent Loop BB0_141 Depth=1
                                        ;     Parent Loop BB0_170 Depth=2
                                        ; =>    This Inner Loop Header: Depth=3
	v_mov_b32_e32 v2, 1
	s_and_saveexec_b64 s[36:37], s[0:1]
	s_cbranch_execz .LBB0_242
; %bb.246:                              ;   in Loop: Header=BB0_245 Depth=3
	global_load_dword v2, v[40:41], off offset:20 glc
	s_waitcnt vmcnt(0)
	buffer_invl2
	buffer_wbinvl1_vol
	v_and_b32_e32 v2, 1, v2
	s_branch .LBB0_242
.LBB0_247:                              ;   in Loop: Header=BB0_170 Depth=2
	global_load_dwordx4 v[18:21], v[6:7], off
	s_and_saveexec_b64 s[36:37], s[0:1]
	s_cbranch_execz .LBB0_169
; %bb.248:                              ;   in Loop: Header=BB0_170 Depth=2
	global_load_dwordx2 v[6:7], v3, s[2:3] offset:40
	global_load_dwordx2 v[24:25], v3, s[2:3] offset:24 glc
	global_load_dwordx2 v[26:27], v3, s[2:3]
	v_mov_b32_e32 v2, s35
	s_waitcnt vmcnt(2)
	v_add_co_u32_e32 v5, vcc, 1, v6
	v_addc_co_u32_e32 v23, vcc, 0, v7, vcc
	v_add_co_u32_e32 v20, vcc, s34, v5
	v_addc_co_u32_e32 v21, vcc, v23, v2, vcc
	v_cmp_eq_u64_e32 vcc, 0, v[20:21]
	v_cndmask_b32_e32 v21, v21, v23, vcc
	v_cndmask_b32_e32 v20, v20, v5, vcc
	v_and_b32_e32 v2, v21, v7
	v_and_b32_e32 v5, v20, v6
	v_mul_lo_u32 v2, v2, 24
	v_mul_hi_u32 v6, v5, 24
	v_mul_lo_u32 v5, v5, 24
	v_add_u32_e32 v2, v6, v2
	s_waitcnt vmcnt(0)
	v_add_co_u32_e32 v6, vcc, v26, v5
	v_addc_co_u32_e32 v7, vcc, v27, v2, vcc
	v_mov_b32_e32 v22, v24
	global_store_dwordx2 v[6:7], v[24:25], off
	v_mov_b32_e32 v23, v25
	buffer_wbl2
	s_waitcnt vmcnt(0)
	global_atomic_cmpswap_x2 v[22:23], v3, v[20:23], s[2:3] offset:24 glc
	s_waitcnt vmcnt(0)
	v_cmp_ne_u64_e32 vcc, v[22:23], v[24:25]
	s_and_b64 exec, exec, vcc
	s_cbranch_execz .LBB0_169
; %bb.249:                              ;   in Loop: Header=BB0_170 Depth=2
	s_mov_b64 s[0:1], 0
.LBB0_250:                              ;   Parent Loop BB0_141 Depth=1
                                        ;     Parent Loop BB0_170 Depth=2
                                        ; =>    This Inner Loop Header: Depth=3
	s_sleep 1
	global_store_dwordx2 v[6:7], v[22:23], off
	buffer_wbl2
	s_waitcnt vmcnt(0)
	global_atomic_cmpswap_x2 v[24:25], v3, v[20:23], s[2:3] offset:24 glc
	s_waitcnt vmcnt(0)
	v_cmp_eq_u64_e32 vcc, v[24:25], v[22:23]
	s_or_b64 s[0:1], vcc, s[0:1]
	v_pk_mov_b32 v[22:23], v[24:25], v[24:25] op_sel:[0,1]
	s_andn2_b64 exec, exec, s[0:1]
	s_cbranch_execnz .LBB0_250
	s_branch .LBB0_169
.LBB0_251:                              ;   in Loop: Header=BB0_141 Depth=1
	s_branch .LBB0_280
.LBB0_252:                              ;   in Loop: Header=BB0_141 Depth=1
                                        ; implicit-def: $vgpr18_vgpr19
	s_cbranch_execz .LBB0_280
; %bb.253:                              ;   in Loop: Header=BB0_141 Depth=1
	v_readfirstlane_b32 s0, v42
	v_cmp_eq_u32_e64 s[0:1], s0, v42
	v_pk_mov_b32 v[6:7], 0, 0
	s_and_saveexec_b64 s[26:27], s[0:1]
	s_cbranch_execz .LBB0_259
; %bb.254:                              ;   in Loop: Header=BB0_141 Depth=1
	global_load_dwordx2 v[20:21], v3, s[2:3] offset:24 glc
	s_waitcnt vmcnt(0)
	buffer_invl2
	buffer_wbinvl1_vol
	global_load_dwordx2 v[6:7], v3, s[2:3] offset:40
	global_load_dwordx2 v[18:19], v3, s[2:3]
	s_waitcnt vmcnt(1)
	v_and_b32_e32 v2, v6, v20
	v_and_b32_e32 v5, v7, v21
	v_mul_lo_u32 v5, v5, 24
	v_mul_hi_u32 v6, v2, 24
	v_mul_lo_u32 v2, v2, 24
	v_add_u32_e32 v5, v6, v5
	s_waitcnt vmcnt(0)
	v_add_co_u32_e32 v6, vcc, v18, v2
	v_addc_co_u32_e32 v7, vcc, v19, v5, vcc
	global_load_dwordx2 v[18:19], v[6:7], off glc
	s_waitcnt vmcnt(0)
	global_atomic_cmpswap_x2 v[6:7], v3, v[18:21], s[2:3] offset:24 glc
	s_waitcnt vmcnt(0)
	buffer_invl2
	buffer_wbinvl1_vol
	v_cmp_ne_u64_e32 vcc, v[6:7], v[20:21]
	s_and_saveexec_b64 s[28:29], vcc
	s_cbranch_execz .LBB0_258
; %bb.255:                              ;   in Loop: Header=BB0_141 Depth=1
	s_mov_b64 s[30:31], 0
.LBB0_256:                              ;   Parent Loop BB0_141 Depth=1
                                        ; =>  This Inner Loop Header: Depth=2
	s_sleep 1
	global_load_dwordx2 v[18:19], v3, s[2:3] offset:40
	global_load_dwordx2 v[22:23], v3, s[2:3]
	v_pk_mov_b32 v[20:21], v[6:7], v[6:7] op_sel:[0,1]
	s_waitcnt vmcnt(1)
	v_and_b32_e32 v2, v18, v20
	s_waitcnt vmcnt(0)
	v_mad_u64_u32 v[6:7], s[34:35], v2, 24, v[22:23]
	v_and_b32_e32 v5, v19, v21
	v_mov_b32_e32 v2, v7
	v_mad_u64_u32 v[18:19], s[34:35], v5, 24, v[2:3]
	v_mov_b32_e32 v7, v18
	global_load_dwordx2 v[18:19], v[6:7], off glc
	s_waitcnt vmcnt(0)
	global_atomic_cmpswap_x2 v[6:7], v3, v[18:21], s[2:3] offset:24 glc
	s_waitcnt vmcnt(0)
	buffer_invl2
	buffer_wbinvl1_vol
	v_cmp_eq_u64_e32 vcc, v[6:7], v[20:21]
	s_or_b64 s[30:31], vcc, s[30:31]
	s_andn2_b64 exec, exec, s[30:31]
	s_cbranch_execnz .LBB0_256
; %bb.257:                              ;   in Loop: Header=BB0_141 Depth=1
	s_or_b64 exec, exec, s[30:31]
.LBB0_258:                              ;   in Loop: Header=BB0_141 Depth=1
	s_or_b64 exec, exec, s[28:29]
.LBB0_259:                              ;   in Loop: Header=BB0_141 Depth=1
	s_or_b64 exec, exec, s[26:27]
	global_load_dwordx2 v[22:23], v3, s[2:3] offset:40
	global_load_dwordx4 v[18:21], v3, s[2:3]
	v_readfirstlane_b32 s26, v6
	v_readfirstlane_b32 s27, v7
	s_mov_b64 s[28:29], exec
	s_waitcnt vmcnt(1)
	v_readfirstlane_b32 s30, v22
	v_readfirstlane_b32 s31, v23
	s_and_b64 s[30:31], s[26:27], s[30:31]
	s_mul_i32 s34, s31, 24
	s_mul_hi_u32 s35, s30, 24
	s_mul_i32 s36, s30, 24
	s_add_i32 s34, s35, s34
	v_mov_b32_e32 v2, s34
	s_waitcnt vmcnt(0)
	v_add_co_u32_e32 v22, vcc, s36, v18
	v_addc_co_u32_e32 v23, vcc, v19, v2, vcc
	s_and_saveexec_b64 s[34:35], s[0:1]
	s_cbranch_execz .LBB0_261
; %bb.260:                              ;   in Loop: Header=BB0_141 Depth=1
	v_pk_mov_b32 v[6:7], s[28:29], s[28:29] op_sel:[0,1]
	global_store_dwordx4 v[22:23], v[6:9], off offset:8
.LBB0_261:                              ;   in Loop: Header=BB0_141 Depth=1
	s_or_b64 exec, exec, s[34:35]
	s_lshl_b64 s[28:29], s[30:31], 12
	v_mov_b32_e32 v2, s29
	v_add_co_u32_e32 v6, vcc, s28, v20
	v_addc_co_u32_e32 v5, vcc, v21, v2, vcc
	v_pk_mov_b32 v[26:27], s[6:7], s[6:7] op_sel:[0,1]
	v_and_or_b32 v0, v0, s8, 32
	v_mov_b32_e32 v2, v3
	v_readfirstlane_b32 s28, v6
	v_readfirstlane_b32 s29, v5
	v_pk_mov_b32 v[24:25], s[4:5], s[4:5] op_sel:[0,1]
	s_nop 3
	global_store_dwordx4 v43, v[0:3], s[28:29]
	global_store_dwordx4 v43, v[24:27], s[28:29] offset:16
	global_store_dwordx4 v43, v[24:27], s[28:29] offset:32
	;; [unrolled: 1-line block ×3, first 2 shown]
	s_and_saveexec_b64 s[28:29], s[0:1]
	s_cbranch_execz .LBB0_269
; %bb.262:                              ;   in Loop: Header=BB0_141 Depth=1
	global_load_dwordx2 v[26:27], v3, s[2:3] offset:32 glc
	global_load_dwordx2 v[0:1], v3, s[2:3] offset:40
	v_mov_b32_e32 v24, s26
	v_mov_b32_e32 v25, s27
	s_waitcnt vmcnt(0)
	v_readfirstlane_b32 s30, v0
	v_readfirstlane_b32 s31, v1
	s_and_b64 s[30:31], s[30:31], s[26:27]
	s_mul_i32 s31, s31, 24
	s_mul_hi_u32 s34, s30, 24
	s_mul_i32 s30, s30, 24
	s_add_i32 s31, s34, s31
	v_mov_b32_e32 v1, s31
	v_add_co_u32_e32 v0, vcc, s30, v18
	v_addc_co_u32_e32 v1, vcc, v19, v1, vcc
	global_store_dwordx2 v[0:1], v[26:27], off
	buffer_wbl2
	s_waitcnt vmcnt(0)
	global_atomic_cmpswap_x2 v[20:21], v3, v[24:27], s[2:3] offset:32 glc
	s_waitcnt vmcnt(0)
	v_cmp_ne_u64_e32 vcc, v[20:21], v[26:27]
	s_and_saveexec_b64 s[30:31], vcc
	s_cbranch_execz .LBB0_265
; %bb.263:                              ;   in Loop: Header=BB0_141 Depth=1
	s_mov_b64 s[34:35], 0
.LBB0_264:                              ;   Parent Loop BB0_141 Depth=1
                                        ; =>  This Inner Loop Header: Depth=2
	s_sleep 1
	global_store_dwordx2 v[0:1], v[20:21], off
	v_mov_b32_e32 v18, s26
	v_mov_b32_e32 v19, s27
	buffer_wbl2
	s_waitcnt vmcnt(0)
	global_atomic_cmpswap_x2 v[18:19], v3, v[18:21], s[2:3] offset:32 glc
	s_waitcnt vmcnt(0)
	v_cmp_eq_u64_e32 vcc, v[18:19], v[20:21]
	s_or_b64 s[34:35], vcc, s[34:35]
	v_pk_mov_b32 v[20:21], v[18:19], v[18:19] op_sel:[0,1]
	s_andn2_b64 exec, exec, s[34:35]
	s_cbranch_execnz .LBB0_264
.LBB0_265:                              ;   in Loop: Header=BB0_141 Depth=1
	s_or_b64 exec, exec, s[30:31]
	global_load_dwordx2 v[0:1], v3, s[2:3] offset:16
	s_mov_b64 s[34:35], exec
	v_mbcnt_lo_u32_b32 v2, s34, 0
	v_mbcnt_hi_u32_b32 v2, s35, v2
	v_cmp_eq_u32_e32 vcc, 0, v2
	s_and_saveexec_b64 s[30:31], vcc
	s_cbranch_execz .LBB0_267
; %bb.266:                              ;   in Loop: Header=BB0_141 Depth=1
	s_bcnt1_i32_b64 s34, s[34:35]
	v_mov_b32_e32 v2, s34
	buffer_wbl2
	s_waitcnt vmcnt(0)
	global_atomic_add_x2 v[0:1], v[2:3], off offset:8
.LBB0_267:                              ;   in Loop: Header=BB0_141 Depth=1
	s_or_b64 exec, exec, s[30:31]
	s_waitcnt vmcnt(0)
	global_load_dwordx2 v[18:19], v[0:1], off offset:16
	s_waitcnt vmcnt(0)
	v_cmp_eq_u64_e32 vcc, 0, v[18:19]
	s_cbranch_vccnz .LBB0_269
; %bb.268:                              ;   in Loop: Header=BB0_141 Depth=1
	global_load_dword v2, v[0:1], off offset:24
	s_waitcnt vmcnt(0)
	v_and_b32_e32 v0, 0xffffff, v2
	v_readfirstlane_b32 m0, v0
	buffer_wbl2
	global_store_dwordx2 v[18:19], v[2:3], off
	s_sendmsg sendmsg(MSG_INTERRUPT)
.LBB0_269:                              ;   in Loop: Header=BB0_141 Depth=1
	s_or_b64 exec, exec, s[28:29]
	v_add_co_u32_e32 v0, vcc, v6, v43
	v_addc_co_u32_e32 v1, vcc, 0, v5, vcc
	s_branch .LBB0_273
.LBB0_270:                              ;   in Loop: Header=BB0_273 Depth=2
	s_or_b64 exec, exec, s[28:29]
	v_readfirstlane_b32 s28, v2
	s_cmp_eq_u32 s28, 0
	s_cbranch_scc1 .LBB0_272
; %bb.271:                              ;   in Loop: Header=BB0_273 Depth=2
	s_sleep 1
	s_cbranch_execnz .LBB0_273
	s_branch .LBB0_275
.LBB0_272:                              ;   in Loop: Header=BB0_141 Depth=1
	s_branch .LBB0_275
.LBB0_273:                              ;   Parent Loop BB0_141 Depth=1
                                        ; =>  This Inner Loop Header: Depth=2
	v_mov_b32_e32 v2, 1
	s_and_saveexec_b64 s[28:29], s[0:1]
	s_cbranch_execz .LBB0_270
; %bb.274:                              ;   in Loop: Header=BB0_273 Depth=2
	global_load_dword v2, v[22:23], off offset:20 glc
	s_waitcnt vmcnt(0)
	buffer_invl2
	buffer_wbinvl1_vol
	v_and_b32_e32 v2, 1, v2
	s_branch .LBB0_270
.LBB0_275:                              ;   in Loop: Header=BB0_141 Depth=1
	global_load_dwordx2 v[18:19], v[0:1], off
	s_and_saveexec_b64 s[28:29], s[0:1]
	s_cbranch_execz .LBB0_279
; %bb.276:                              ;   in Loop: Header=BB0_141 Depth=1
	global_load_dwordx2 v[0:1], v3, s[2:3] offset:40
	global_load_dwordx2 v[6:7], v3, s[2:3] offset:24 glc
	global_load_dwordx2 v[24:25], v3, s[2:3]
	v_mov_b32_e32 v2, s27
	s_waitcnt vmcnt(2)
	v_add_co_u32_e32 v5, vcc, 1, v0
	v_addc_co_u32_e32 v23, vcc, 0, v1, vcc
	v_add_co_u32_e32 v20, vcc, s26, v5
	v_addc_co_u32_e32 v21, vcc, v23, v2, vcc
	v_cmp_eq_u64_e32 vcc, 0, v[20:21]
	v_cndmask_b32_e32 v21, v21, v23, vcc
	v_cndmask_b32_e32 v20, v20, v5, vcc
	v_and_b32_e32 v1, v21, v1
	v_and_b32_e32 v0, v20, v0
	v_mul_lo_u32 v1, v1, 24
	v_mul_hi_u32 v2, v0, 24
	v_mul_lo_u32 v0, v0, 24
	v_add_u32_e32 v1, v2, v1
	s_waitcnt vmcnt(0)
	v_add_co_u32_e32 v0, vcc, v24, v0
	v_addc_co_u32_e32 v1, vcc, v25, v1, vcc
	v_mov_b32_e32 v22, v6
	global_store_dwordx2 v[0:1], v[6:7], off
	v_mov_b32_e32 v23, v7
	buffer_wbl2
	s_waitcnt vmcnt(0)
	global_atomic_cmpswap_x2 v[22:23], v3, v[20:23], s[2:3] offset:24 glc
	s_waitcnt vmcnt(0)
	v_cmp_ne_u64_e32 vcc, v[22:23], v[6:7]
	s_and_b64 exec, exec, vcc
	s_cbranch_execz .LBB0_279
; %bb.277:                              ;   in Loop: Header=BB0_141 Depth=1
	s_mov_b64 s[0:1], 0
.LBB0_278:                              ;   Parent Loop BB0_141 Depth=1
                                        ; =>  This Inner Loop Header: Depth=2
	s_sleep 1
	global_store_dwordx2 v[0:1], v[22:23], off
	buffer_wbl2
	s_waitcnt vmcnt(0)
	global_atomic_cmpswap_x2 v[6:7], v3, v[20:23], s[2:3] offset:24 glc
	s_waitcnt vmcnt(0)
	v_cmp_eq_u64_e32 vcc, v[6:7], v[22:23]
	s_or_b64 s[0:1], vcc, s[0:1]
	v_pk_mov_b32 v[22:23], v[6:7], v[6:7] op_sel:[0,1]
	s_andn2_b64 exec, exec, s[0:1]
	s_cbranch_execnz .LBB0_278
.LBB0_279:                              ;   in Loop: Header=BB0_141 Depth=1
	s_or_b64 exec, exec, s[28:29]
.LBB0_280:                              ;   in Loop: Header=BB0_141 Depth=1
	v_readfirstlane_b32 s0, v42
	v_cmp_eq_u32_e64 s[0:1], s0, v42
	s_waitcnt vmcnt(0)
	v_pk_mov_b32 v[0:1], 0, 0
	s_and_saveexec_b64 s[26:27], s[0:1]
	s_cbranch_execz .LBB0_286
; %bb.281:                              ;   in Loop: Header=BB0_141 Depth=1
	global_load_dwordx2 v[22:23], v3, s[2:3] offset:24 glc
	s_waitcnt vmcnt(0)
	buffer_invl2
	buffer_wbinvl1_vol
	global_load_dwordx2 v[0:1], v3, s[2:3] offset:40
	global_load_dwordx2 v[6:7], v3, s[2:3]
	s_waitcnt vmcnt(1)
	v_and_b32_e32 v0, v0, v22
	v_and_b32_e32 v1, v1, v23
	v_mul_lo_u32 v1, v1, 24
	v_mul_hi_u32 v2, v0, 24
	v_mul_lo_u32 v0, v0, 24
	v_add_u32_e32 v1, v2, v1
	s_waitcnt vmcnt(0)
	v_add_co_u32_e32 v0, vcc, v6, v0
	v_addc_co_u32_e32 v1, vcc, v7, v1, vcc
	global_load_dwordx2 v[20:21], v[0:1], off glc
	s_waitcnt vmcnt(0)
	global_atomic_cmpswap_x2 v[0:1], v3, v[20:23], s[2:3] offset:24 glc
	s_waitcnt vmcnt(0)
	buffer_invl2
	buffer_wbinvl1_vol
	v_cmp_ne_u64_e32 vcc, v[0:1], v[22:23]
	s_and_saveexec_b64 s[28:29], vcc
	s_cbranch_execz .LBB0_285
; %bb.282:                              ;   in Loop: Header=BB0_141 Depth=1
	s_mov_b64 s[30:31], 0
.LBB0_283:                              ;   Parent Loop BB0_141 Depth=1
                                        ; =>  This Inner Loop Header: Depth=2
	s_sleep 1
	global_load_dwordx2 v[6:7], v3, s[2:3] offset:40
	global_load_dwordx2 v[20:21], v3, s[2:3]
	v_pk_mov_b32 v[22:23], v[0:1], v[0:1] op_sel:[0,1]
	s_waitcnt vmcnt(1)
	v_and_b32_e32 v0, v6, v22
	s_waitcnt vmcnt(0)
	v_mad_u64_u32 v[0:1], s[34:35], v0, 24, v[20:21]
	v_and_b32_e32 v5, v7, v23
	v_mov_b32_e32 v2, v1
	v_mad_u64_u32 v[6:7], s[34:35], v5, 24, v[2:3]
	v_mov_b32_e32 v1, v6
	global_load_dwordx2 v[20:21], v[0:1], off glc
	s_waitcnt vmcnt(0)
	global_atomic_cmpswap_x2 v[0:1], v3, v[20:23], s[2:3] offset:24 glc
	s_waitcnt vmcnt(0)
	buffer_invl2
	buffer_wbinvl1_vol
	v_cmp_eq_u64_e32 vcc, v[0:1], v[22:23]
	s_or_b64 s[30:31], vcc, s[30:31]
	s_andn2_b64 exec, exec, s[30:31]
	s_cbranch_execnz .LBB0_283
; %bb.284:                              ;   in Loop: Header=BB0_141 Depth=1
	s_or_b64 exec, exec, s[30:31]
.LBB0_285:                              ;   in Loop: Header=BB0_141 Depth=1
	s_or_b64 exec, exec, s[28:29]
.LBB0_286:                              ;   in Loop: Header=BB0_141 Depth=1
	s_or_b64 exec, exec, s[26:27]
	global_load_dwordx2 v[6:7], v3, s[2:3] offset:40
	global_load_dwordx4 v[22:25], v3, s[2:3]
	v_readfirstlane_b32 s26, v0
	v_readfirstlane_b32 s27, v1
	s_mov_b64 s[28:29], exec
	s_waitcnt vmcnt(1)
	v_readfirstlane_b32 s30, v6
	v_readfirstlane_b32 s31, v7
	s_and_b64 s[30:31], s[26:27], s[30:31]
	s_mul_i32 s34, s31, 24
	s_mul_hi_u32 s35, s30, 24
	s_mul_i32 s36, s30, 24
	s_add_i32 s34, s35, s34
	v_mov_b32_e32 v1, s34
	s_waitcnt vmcnt(0)
	v_add_co_u32_e32 v0, vcc, s36, v22
	v_addc_co_u32_e32 v1, vcc, v23, v1, vcc
	s_and_saveexec_b64 s[34:35], s[0:1]
	s_cbranch_execz .LBB0_288
; %bb.287:                              ;   in Loop: Header=BB0_141 Depth=1
	v_pk_mov_b32 v[6:7], s[28:29], s[28:29] op_sel:[0,1]
	global_store_dwordx4 v[0:1], v[6:9], off offset:8
.LBB0_288:                              ;   in Loop: Header=BB0_141 Depth=1
	s_or_b64 exec, exec, s[34:35]
	s_lshl_b64 s[28:29], s[30:31], 12
	v_mov_b32_e32 v5, s29
	v_add_co_u32_e32 v2, vcc, s28, v24
	v_addc_co_u32_e32 v5, vcc, v25, v5, vcc
	v_and_or_b32 v18, v18, s11, 34
	v_mov_b32_e32 v20, s18
	v_mov_b32_e32 v21, v3
	v_readfirstlane_b32 s28, v2
	v_readfirstlane_b32 s29, v5
	s_nop 4
	global_store_dwordx4 v43, v[18:21], s[28:29]
	s_nop 0
	v_pk_mov_b32 v[20:21], s[6:7], s[6:7] op_sel:[0,1]
	v_pk_mov_b32 v[18:19], s[4:5], s[4:5] op_sel:[0,1]
	global_store_dwordx4 v43, v[18:21], s[28:29] offset:16
	global_store_dwordx4 v43, v[18:21], s[28:29] offset:32
	;; [unrolled: 1-line block ×3, first 2 shown]
	s_and_saveexec_b64 s[28:29], s[0:1]
	s_cbranch_execz .LBB0_296
; %bb.289:                              ;   in Loop: Header=BB0_141 Depth=1
	global_load_dwordx2 v[26:27], v3, s[2:3] offset:32 glc
	global_load_dwordx2 v[6:7], v3, s[2:3] offset:40
	v_mov_b32_e32 v24, s26
	v_mov_b32_e32 v25, s27
	s_waitcnt vmcnt(0)
	v_readfirstlane_b32 s30, v6
	v_readfirstlane_b32 s31, v7
	s_and_b64 s[30:31], s[30:31], s[26:27]
	s_mul_i32 s31, s31, 24
	s_mul_hi_u32 s34, s30, 24
	s_mul_i32 s30, s30, 24
	s_add_i32 s31, s34, s31
	v_mov_b32_e32 v2, s31
	v_add_co_u32_e32 v6, vcc, s30, v22
	v_addc_co_u32_e32 v7, vcc, v23, v2, vcc
	global_store_dwordx2 v[6:7], v[26:27], off
	buffer_wbl2
	s_waitcnt vmcnt(0)
	global_atomic_cmpswap_x2 v[20:21], v3, v[24:27], s[2:3] offset:32 glc
	s_waitcnt vmcnt(0)
	v_cmp_ne_u64_e32 vcc, v[20:21], v[26:27]
	s_and_saveexec_b64 s[30:31], vcc
	s_cbranch_execz .LBB0_292
; %bb.290:                              ;   in Loop: Header=BB0_141 Depth=1
	s_mov_b64 s[34:35], 0
.LBB0_291:                              ;   Parent Loop BB0_141 Depth=1
                                        ; =>  This Inner Loop Header: Depth=2
	s_sleep 1
	global_store_dwordx2 v[6:7], v[20:21], off
	v_mov_b32_e32 v18, s26
	v_mov_b32_e32 v19, s27
	buffer_wbl2
	s_waitcnt vmcnt(0)
	global_atomic_cmpswap_x2 v[18:19], v3, v[18:21], s[2:3] offset:32 glc
	s_waitcnt vmcnt(0)
	v_cmp_eq_u64_e32 vcc, v[18:19], v[20:21]
	s_or_b64 s[34:35], vcc, s[34:35]
	v_pk_mov_b32 v[20:21], v[18:19], v[18:19] op_sel:[0,1]
	s_andn2_b64 exec, exec, s[34:35]
	s_cbranch_execnz .LBB0_291
.LBB0_292:                              ;   in Loop: Header=BB0_141 Depth=1
	s_or_b64 exec, exec, s[30:31]
	global_load_dwordx2 v[6:7], v3, s[2:3] offset:16
	s_mov_b64 s[34:35], exec
	v_mbcnt_lo_u32_b32 v2, s34, 0
	v_mbcnt_hi_u32_b32 v2, s35, v2
	v_cmp_eq_u32_e32 vcc, 0, v2
	s_and_saveexec_b64 s[30:31], vcc
	s_cbranch_execz .LBB0_294
; %bb.293:                              ;   in Loop: Header=BB0_141 Depth=1
	s_bcnt1_i32_b64 s34, s[34:35]
	v_mov_b32_e32 v2, s34
	buffer_wbl2
	s_waitcnt vmcnt(0)
	global_atomic_add_x2 v[6:7], v[2:3], off offset:8
.LBB0_294:                              ;   in Loop: Header=BB0_141 Depth=1
	s_or_b64 exec, exec, s[30:31]
	s_waitcnt vmcnt(0)
	global_load_dwordx2 v[18:19], v[6:7], off offset:16
	s_waitcnt vmcnt(0)
	v_cmp_eq_u64_e32 vcc, 0, v[18:19]
	s_cbranch_vccnz .LBB0_296
; %bb.295:                              ;   in Loop: Header=BB0_141 Depth=1
	global_load_dword v2, v[6:7], off offset:24
	buffer_wbl2
	s_waitcnt vmcnt(0)
	global_store_dwordx2 v[18:19], v[2:3], off
	v_and_b32_e32 v2, 0xffffff, v2
	v_readfirstlane_b32 m0, v2
	s_sendmsg sendmsg(MSG_INTERRUPT)
.LBB0_296:                              ;   in Loop: Header=BB0_141 Depth=1
	s_or_b64 exec, exec, s[28:29]
	s_branch .LBB0_300
.LBB0_297:                              ;   in Loop: Header=BB0_300 Depth=2
	s_or_b64 exec, exec, s[28:29]
	v_readfirstlane_b32 s28, v2
	s_cmp_eq_u32 s28, 0
	s_cbranch_scc1 .LBB0_299
; %bb.298:                              ;   in Loop: Header=BB0_300 Depth=2
	s_sleep 1
	s_cbranch_execnz .LBB0_300
	s_branch .LBB0_302
.LBB0_299:                              ;   in Loop: Header=BB0_141 Depth=1
	s_branch .LBB0_302
.LBB0_300:                              ;   Parent Loop BB0_141 Depth=1
                                        ; =>  This Inner Loop Header: Depth=2
	v_mov_b32_e32 v2, 1
	s_and_saveexec_b64 s[28:29], s[0:1]
	s_cbranch_execz .LBB0_297
; %bb.301:                              ;   in Loop: Header=BB0_300 Depth=2
	global_load_dword v2, v[0:1], off offset:20 glc
	s_waitcnt vmcnt(0)
	buffer_invl2
	buffer_wbinvl1_vol
	v_and_b32_e32 v2, 1, v2
	s_branch .LBB0_297
.LBB0_302:                              ;   in Loop: Header=BB0_141 Depth=1
	s_and_saveexec_b64 s[28:29], s[0:1]
	s_cbranch_execz .LBB0_306
; %bb.303:                              ;   in Loop: Header=BB0_141 Depth=1
	global_load_dwordx2 v[0:1], v3, s[2:3] offset:40
	global_load_dwordx2 v[6:7], v3, s[2:3] offset:24 glc
	global_load_dwordx2 v[22:23], v3, s[2:3]
	v_mov_b32_e32 v2, s27
	s_waitcnt vmcnt(2)
	v_add_co_u32_e32 v5, vcc, 1, v0
	v_addc_co_u32_e32 v21, vcc, 0, v1, vcc
	v_add_co_u32_e32 v18, vcc, s26, v5
	v_addc_co_u32_e32 v19, vcc, v21, v2, vcc
	v_cmp_eq_u64_e32 vcc, 0, v[18:19]
	v_cndmask_b32_e32 v19, v19, v21, vcc
	v_cndmask_b32_e32 v18, v18, v5, vcc
	v_and_b32_e32 v1, v19, v1
	v_and_b32_e32 v0, v18, v0
	v_mul_lo_u32 v1, v1, 24
	v_mul_hi_u32 v2, v0, 24
	v_mul_lo_u32 v0, v0, 24
	v_add_u32_e32 v1, v2, v1
	s_waitcnt vmcnt(0)
	v_add_co_u32_e32 v0, vcc, v22, v0
	v_addc_co_u32_e32 v1, vcc, v23, v1, vcc
	v_mov_b32_e32 v20, v6
	global_store_dwordx2 v[0:1], v[6:7], off
	v_mov_b32_e32 v21, v7
	buffer_wbl2
	s_waitcnt vmcnt(0)
	global_atomic_cmpswap_x2 v[20:21], v3, v[18:21], s[2:3] offset:24 glc
	s_waitcnt vmcnt(0)
	v_cmp_ne_u64_e32 vcc, v[20:21], v[6:7]
	s_and_b64 exec, exec, vcc
	s_cbranch_execz .LBB0_306
; %bb.304:                              ;   in Loop: Header=BB0_141 Depth=1
	s_mov_b64 s[0:1], 0
.LBB0_305:                              ;   Parent Loop BB0_141 Depth=1
                                        ; =>  This Inner Loop Header: Depth=2
	s_sleep 1
	global_store_dwordx2 v[0:1], v[20:21], off
	buffer_wbl2
	s_waitcnt vmcnt(0)
	global_atomic_cmpswap_x2 v[6:7], v3, v[18:21], s[2:3] offset:24 glc
	s_waitcnt vmcnt(0)
	v_cmp_eq_u64_e32 vcc, v[6:7], v[20:21]
	s_or_b64 s[0:1], vcc, s[0:1]
	v_pk_mov_b32 v[20:21], v[6:7], v[6:7] op_sel:[0,1]
	s_andn2_b64 exec, exec, s[0:1]
	s_cbranch_execnz .LBB0_305
.LBB0_306:                              ;   in Loop: Header=BB0_141 Depth=1
	s_or_b64 exec, exec, s[28:29]
	v_readfirstlane_b32 s0, v42
	v_cmp_eq_u32_e64 s[0:1], s0, v42
	v_pk_mov_b32 v[0:1], 0, 0
	s_and_saveexec_b64 s[26:27], s[0:1]
	s_cbranch_execz .LBB0_312
; %bb.307:                              ;   in Loop: Header=BB0_141 Depth=1
	global_load_dwordx2 v[20:21], v3, s[2:3] offset:24 glc
	s_waitcnt vmcnt(0)
	buffer_invl2
	buffer_wbinvl1_vol
	global_load_dwordx2 v[0:1], v3, s[2:3] offset:40
	global_load_dwordx2 v[6:7], v3, s[2:3]
	s_waitcnt vmcnt(1)
	v_and_b32_e32 v0, v0, v20
	v_and_b32_e32 v1, v1, v21
	v_mul_lo_u32 v1, v1, 24
	v_mul_hi_u32 v2, v0, 24
	v_mul_lo_u32 v0, v0, 24
	v_add_u32_e32 v1, v2, v1
	s_waitcnt vmcnt(0)
	v_add_co_u32_e32 v0, vcc, v6, v0
	v_addc_co_u32_e32 v1, vcc, v7, v1, vcc
	global_load_dwordx2 v[18:19], v[0:1], off glc
	s_waitcnt vmcnt(0)
	global_atomic_cmpswap_x2 v[0:1], v3, v[18:21], s[2:3] offset:24 glc
	s_waitcnt vmcnt(0)
	buffer_invl2
	buffer_wbinvl1_vol
	v_cmp_ne_u64_e32 vcc, v[0:1], v[20:21]
	s_and_saveexec_b64 s[28:29], vcc
	s_cbranch_execz .LBB0_311
; %bb.308:                              ;   in Loop: Header=BB0_141 Depth=1
	s_mov_b64 s[30:31], 0
.LBB0_309:                              ;   Parent Loop BB0_141 Depth=1
                                        ; =>  This Inner Loop Header: Depth=2
	s_sleep 1
	global_load_dwordx2 v[6:7], v3, s[2:3] offset:40
	global_load_dwordx2 v[18:19], v3, s[2:3]
	v_pk_mov_b32 v[20:21], v[0:1], v[0:1] op_sel:[0,1]
	s_waitcnt vmcnt(1)
	v_and_b32_e32 v0, v6, v20
	s_waitcnt vmcnt(0)
	v_mad_u64_u32 v[0:1], s[34:35], v0, 24, v[18:19]
	v_and_b32_e32 v5, v7, v21
	v_mov_b32_e32 v2, v1
	v_mad_u64_u32 v[6:7], s[34:35], v5, 24, v[2:3]
	v_mov_b32_e32 v1, v6
	global_load_dwordx2 v[18:19], v[0:1], off glc
	s_waitcnt vmcnt(0)
	global_atomic_cmpswap_x2 v[0:1], v3, v[18:21], s[2:3] offset:24 glc
	s_waitcnt vmcnt(0)
	buffer_invl2
	buffer_wbinvl1_vol
	v_cmp_eq_u64_e32 vcc, v[0:1], v[20:21]
	s_or_b64 s[30:31], vcc, s[30:31]
	s_andn2_b64 exec, exec, s[30:31]
	s_cbranch_execnz .LBB0_309
; %bb.310:                              ;   in Loop: Header=BB0_141 Depth=1
	s_or_b64 exec, exec, s[30:31]
.LBB0_311:                              ;   in Loop: Header=BB0_141 Depth=1
	s_or_b64 exec, exec, s[28:29]
.LBB0_312:                              ;   in Loop: Header=BB0_141 Depth=1
	s_or_b64 exec, exec, s[26:27]
	global_load_dwordx2 v[6:7], v3, s[2:3] offset:40
	global_load_dwordx4 v[18:21], v3, s[2:3]
	v_readfirstlane_b32 s26, v0
	v_readfirstlane_b32 s27, v1
	s_mov_b64 s[28:29], exec
	s_waitcnt vmcnt(1)
	v_readfirstlane_b32 s30, v6
	v_readfirstlane_b32 s31, v7
	s_and_b64 s[30:31], s[26:27], s[30:31]
	s_mul_i32 s34, s31, 24
	s_mul_hi_u32 s35, s30, 24
	s_mul_i32 s36, s30, 24
	s_add_i32 s34, s35, s34
	v_mov_b32_e32 v1, s34
	s_waitcnt vmcnt(0)
	v_add_co_u32_e32 v0, vcc, s36, v18
	v_addc_co_u32_e32 v1, vcc, v19, v1, vcc
	s_and_saveexec_b64 s[34:35], s[0:1]
	s_cbranch_execz .LBB0_314
; %bb.313:                              ;   in Loop: Header=BB0_141 Depth=1
	v_pk_mov_b32 v[6:7], s[28:29], s[28:29] op_sel:[0,1]
	global_store_dwordx4 v[0:1], v[6:9], off offset:8
.LBB0_314:                              ;   in Loop: Header=BB0_141 Depth=1
	s_or_b64 exec, exec, s[34:35]
	s_lshl_b64 s[28:29], s[30:31], 12
	v_mov_b32_e32 v2, s29
	v_add_co_u32_e32 v22, vcc, s28, v20
	v_addc_co_u32_e32 v23, vcc, v21, v2, vcc
	v_pk_mov_b32 v[26:27], s[6:7], s[6:7] op_sel:[0,1]
	v_mov_b32_e32 v5, v3
	v_mov_b32_e32 v6, v3
	;; [unrolled: 1-line block ×3, first 2 shown]
	v_readfirstlane_b32 s28, v22
	v_readfirstlane_b32 s29, v23
	v_pk_mov_b32 v[24:25], s[4:5], s[4:5] op_sel:[0,1]
	s_nop 3
	global_store_dwordx4 v43, v[4:7], s[28:29]
	global_store_dwordx4 v43, v[24:27], s[28:29] offset:16
	global_store_dwordx4 v43, v[24:27], s[28:29] offset:32
	;; [unrolled: 1-line block ×3, first 2 shown]
	s_and_saveexec_b64 s[28:29], s[0:1]
	s_cbranch_execz .LBB0_322
; %bb.315:                              ;   in Loop: Header=BB0_141 Depth=1
	global_load_dwordx2 v[26:27], v3, s[2:3] offset:32 glc
	global_load_dwordx2 v[6:7], v3, s[2:3] offset:40
	v_mov_b32_e32 v24, s26
	v_mov_b32_e32 v25, s27
	s_waitcnt vmcnt(0)
	v_readfirstlane_b32 s30, v6
	v_readfirstlane_b32 s31, v7
	s_and_b64 s[30:31], s[30:31], s[26:27]
	s_mul_i32 s31, s31, 24
	s_mul_hi_u32 s34, s30, 24
	s_mul_i32 s30, s30, 24
	s_add_i32 s31, s34, s31
	v_mov_b32_e32 v2, s31
	v_add_co_u32_e32 v6, vcc, s30, v18
	v_addc_co_u32_e32 v7, vcc, v19, v2, vcc
	global_store_dwordx2 v[6:7], v[26:27], off
	buffer_wbl2
	s_waitcnt vmcnt(0)
	global_atomic_cmpswap_x2 v[20:21], v3, v[24:27], s[2:3] offset:32 glc
	s_waitcnt vmcnt(0)
	v_cmp_ne_u64_e32 vcc, v[20:21], v[26:27]
	s_and_saveexec_b64 s[30:31], vcc
	s_cbranch_execz .LBB0_318
; %bb.316:                              ;   in Loop: Header=BB0_141 Depth=1
	s_mov_b64 s[34:35], 0
.LBB0_317:                              ;   Parent Loop BB0_141 Depth=1
                                        ; =>  This Inner Loop Header: Depth=2
	s_sleep 1
	global_store_dwordx2 v[6:7], v[20:21], off
	v_mov_b32_e32 v18, s26
	v_mov_b32_e32 v19, s27
	buffer_wbl2
	s_waitcnt vmcnt(0)
	global_atomic_cmpswap_x2 v[18:19], v3, v[18:21], s[2:3] offset:32 glc
	s_waitcnt vmcnt(0)
	v_cmp_eq_u64_e32 vcc, v[18:19], v[20:21]
	s_or_b64 s[34:35], vcc, s[34:35]
	v_pk_mov_b32 v[20:21], v[18:19], v[18:19] op_sel:[0,1]
	s_andn2_b64 exec, exec, s[34:35]
	s_cbranch_execnz .LBB0_317
.LBB0_318:                              ;   in Loop: Header=BB0_141 Depth=1
	s_or_b64 exec, exec, s[30:31]
	global_load_dwordx2 v[6:7], v3, s[2:3] offset:16
	s_mov_b64 s[34:35], exec
	v_mbcnt_lo_u32_b32 v2, s34, 0
	v_mbcnt_hi_u32_b32 v2, s35, v2
	v_cmp_eq_u32_e32 vcc, 0, v2
	s_and_saveexec_b64 s[30:31], vcc
	s_cbranch_execz .LBB0_320
; %bb.319:                              ;   in Loop: Header=BB0_141 Depth=1
	s_bcnt1_i32_b64 s34, s[34:35]
	v_mov_b32_e32 v2, s34
	buffer_wbl2
	s_waitcnt vmcnt(0)
	global_atomic_add_x2 v[6:7], v[2:3], off offset:8
.LBB0_320:                              ;   in Loop: Header=BB0_141 Depth=1
	s_or_b64 exec, exec, s[30:31]
	s_waitcnt vmcnt(0)
	global_load_dwordx2 v[18:19], v[6:7], off offset:16
	s_waitcnt vmcnt(0)
	v_cmp_eq_u64_e32 vcc, 0, v[18:19]
	s_cbranch_vccnz .LBB0_322
; %bb.321:                              ;   in Loop: Header=BB0_141 Depth=1
	global_load_dword v2, v[6:7], off offset:24
	buffer_wbl2
	s_waitcnt vmcnt(0)
	global_store_dwordx2 v[18:19], v[2:3], off
	v_and_b32_e32 v2, 0xffffff, v2
	v_readfirstlane_b32 m0, v2
	s_sendmsg sendmsg(MSG_INTERRUPT)
.LBB0_322:                              ;   in Loop: Header=BB0_141 Depth=1
	s_or_b64 exec, exec, s[28:29]
	v_add_co_u32_e32 v6, vcc, v22, v43
	v_addc_co_u32_e32 v7, vcc, 0, v23, vcc
	s_branch .LBB0_326
.LBB0_323:                              ;   in Loop: Header=BB0_326 Depth=2
	s_or_b64 exec, exec, s[28:29]
	v_readfirstlane_b32 s28, v2
	s_cmp_eq_u32 s28, 0
	s_cbranch_scc1 .LBB0_325
; %bb.324:                              ;   in Loop: Header=BB0_326 Depth=2
	s_sleep 1
	s_cbranch_execnz .LBB0_326
	s_branch .LBB0_328
.LBB0_325:                              ;   in Loop: Header=BB0_141 Depth=1
	s_branch .LBB0_328
.LBB0_326:                              ;   Parent Loop BB0_141 Depth=1
                                        ; =>  This Inner Loop Header: Depth=2
	v_mov_b32_e32 v2, 1
	s_and_saveexec_b64 s[28:29], s[0:1]
	s_cbranch_execz .LBB0_323
; %bb.327:                              ;   in Loop: Header=BB0_326 Depth=2
	global_load_dword v2, v[0:1], off offset:20 glc
	s_waitcnt vmcnt(0)
	buffer_invl2
	buffer_wbinvl1_vol
	v_and_b32_e32 v2, 1, v2
	s_branch .LBB0_323
.LBB0_328:                              ;   in Loop: Header=BB0_141 Depth=1
	global_load_dwordx2 v[0:1], v[6:7], off
	s_and_saveexec_b64 s[28:29], s[0:1]
	s_cbranch_execz .LBB0_332
; %bb.329:                              ;   in Loop: Header=BB0_141 Depth=1
	global_load_dwordx2 v[6:7], v3, s[2:3] offset:40
	global_load_dwordx2 v[22:23], v3, s[2:3] offset:24 glc
	global_load_dwordx2 v[24:25], v3, s[2:3]
	v_mov_b32_e32 v2, s27
	s_waitcnt vmcnt(2)
	v_add_co_u32_e32 v5, vcc, 1, v6
	v_addc_co_u32_e32 v21, vcc, 0, v7, vcc
	v_add_co_u32_e32 v18, vcc, s26, v5
	v_addc_co_u32_e32 v19, vcc, v21, v2, vcc
	v_cmp_eq_u64_e32 vcc, 0, v[18:19]
	v_cndmask_b32_e32 v19, v19, v21, vcc
	v_cndmask_b32_e32 v18, v18, v5, vcc
	v_and_b32_e32 v2, v19, v7
	v_and_b32_e32 v5, v18, v6
	v_mul_lo_u32 v2, v2, 24
	v_mul_hi_u32 v6, v5, 24
	v_mul_lo_u32 v5, v5, 24
	v_add_u32_e32 v2, v6, v2
	s_waitcnt vmcnt(0)
	v_add_co_u32_e32 v6, vcc, v24, v5
	v_addc_co_u32_e32 v7, vcc, v25, v2, vcc
	v_mov_b32_e32 v20, v22
	global_store_dwordx2 v[6:7], v[22:23], off
	v_mov_b32_e32 v21, v23
	buffer_wbl2
	s_waitcnt vmcnt(0)
	global_atomic_cmpswap_x2 v[20:21], v3, v[18:21], s[2:3] offset:24 glc
	s_waitcnt vmcnt(0)
	v_cmp_ne_u64_e32 vcc, v[20:21], v[22:23]
	s_and_b64 exec, exec, vcc
	s_cbranch_execz .LBB0_332
; %bb.330:                              ;   in Loop: Header=BB0_141 Depth=1
	s_mov_b64 s[0:1], 0
.LBB0_331:                              ;   Parent Loop BB0_141 Depth=1
                                        ; =>  This Inner Loop Header: Depth=2
	s_sleep 1
	global_store_dwordx2 v[6:7], v[20:21], off
	buffer_wbl2
	s_waitcnt vmcnt(0)
	global_atomic_cmpswap_x2 v[22:23], v3, v[18:21], s[2:3] offset:24 glc
	s_waitcnt vmcnt(0)
	v_cmp_eq_u64_e32 vcc, v[22:23], v[20:21]
	s_or_b64 s[0:1], vcc, s[0:1]
	v_pk_mov_b32 v[20:21], v[22:23], v[22:23] op_sel:[0,1]
	s_andn2_b64 exec, exec, s[0:1]
	s_cbranch_execnz .LBB0_331
.LBB0_332:                              ;   in Loop: Header=BB0_141 Depth=1
	s_or_b64 exec, exec, s[28:29]
	s_and_b64 vcc, exec, s[22:23]
	s_cbranch_vccz .LBB0_417
; %bb.333:                              ;   in Loop: Header=BB0_141 Depth=1
	s_waitcnt vmcnt(0)
	v_and_b32_e32 v38, 2, v0
	v_and_b32_e32 v18, -3, v0
	v_mov_b32_e32 v19, v1
	s_mov_b64 s[28:29], 6
	s_getpc_b64 s[26:27]
	s_add_u32 s26, s26, .str.2@rel32@lo+4
	s_addc_u32 s27, s27, .str.2@rel32@hi+12
	s_branch .LBB0_335
.LBB0_334:                              ;   in Loop: Header=BB0_335 Depth=2
	s_or_b64 exec, exec, s[36:37]
	s_sub_u32 s28, s28, s30
	s_subb_u32 s29, s29, s31
	s_add_u32 s26, s26, s30
	s_addc_u32 s27, s27, s31
	s_cmp_lg_u64 s[28:29], 0
	s_cbranch_scc0 .LBB0_416
.LBB0_335:                              ;   Parent Loop BB0_141 Depth=1
                                        ; =>  This Loop Header: Depth=2
                                        ;       Child Loop BB0_338 Depth 3
                                        ;       Child Loop BB0_345 Depth 3
                                        ;       Child Loop BB0_353 Depth 3
                                        ;       Child Loop BB0_361 Depth 3
                                        ;       Child Loop BB0_369 Depth 3
                                        ;       Child Loop BB0_377 Depth 3
                                        ;       Child Loop BB0_385 Depth 3
                                        ;       Child Loop BB0_393 Depth 3
                                        ;       Child Loop BB0_401 Depth 3
                                        ;       Child Loop BB0_410 Depth 3
                                        ;       Child Loop BB0_415 Depth 3
	v_cmp_lt_u64_e64 s[0:1], s[28:29], 56
	s_and_b64 s[0:1], s[0:1], exec
	v_cmp_gt_u64_e64 s[0:1], s[28:29], 7
	s_cselect_b32 s31, s29, 0
	s_cselect_b32 s30, s28, 56
	s_and_b64 vcc, exec, s[0:1]
	s_cbranch_vccnz .LBB0_340
; %bb.336:                              ;   in Loop: Header=BB0_335 Depth=2
	s_mov_b64 s[0:1], 0
	s_cmp_eq_u64 s[28:29], 0
	s_waitcnt vmcnt(0)
	v_pk_mov_b32 v[20:21], 0, 0
	s_cbranch_scc1 .LBB0_339
; %bb.337:                              ;   in Loop: Header=BB0_335 Depth=2
	s_lshl_b64 s[34:35], s[30:31], 3
	s_mov_b64 s[36:37], 0
	v_pk_mov_b32 v[20:21], 0, 0
	s_mov_b64 s[38:39], s[26:27]
.LBB0_338:                              ;   Parent Loop BB0_141 Depth=1
                                        ;     Parent Loop BB0_335 Depth=2
                                        ; =>    This Inner Loop Header: Depth=3
	global_load_ubyte v2, v3, s[38:39]
	s_waitcnt vmcnt(0)
	v_and_b32_e32 v2, 0xffff, v2
	v_lshlrev_b64 v[6:7], s36, v[2:3]
	s_add_u32 s36, s36, 8
	s_addc_u32 s37, s37, 0
	s_add_u32 s38, s38, 1
	s_addc_u32 s39, s39, 0
	v_or_b32_e32 v20, v6, v20
	s_cmp_lg_u32 s34, s36
	v_or_b32_e32 v21, v7, v21
	s_cbranch_scc1 .LBB0_338
.LBB0_339:                              ;   in Loop: Header=BB0_335 Depth=2
	s_mov_b32 s38, 0
	s_andn2_b64 vcc, exec, s[0:1]
	s_mov_b64 s[0:1], s[26:27]
	s_cbranch_vccz .LBB0_341
	s_branch .LBB0_342
.LBB0_340:                              ;   in Loop: Header=BB0_335 Depth=2
                                        ; implicit-def: $vgpr20_vgpr21
                                        ; implicit-def: $sgpr38
	s_mov_b64 s[0:1], s[26:27]
.LBB0_341:                              ;   in Loop: Header=BB0_335 Depth=2
	global_load_dwordx2 v[20:21], v3, s[26:27]
	s_add_i32 s38, s30, -8
	s_add_u32 s0, s26, 8
	s_addc_u32 s1, s27, 0
.LBB0_342:                              ;   in Loop: Header=BB0_335 Depth=2
	s_cmp_gt_u32 s38, 7
	s_cbranch_scc1 .LBB0_346
; %bb.343:                              ;   in Loop: Header=BB0_335 Depth=2
	s_cmp_eq_u32 s38, 0
	s_cbranch_scc1 .LBB0_347
; %bb.344:                              ;   in Loop: Header=BB0_335 Depth=2
	s_mov_b64 s[34:35], 0
	v_pk_mov_b32 v[22:23], 0, 0
	s_mov_b64 s[36:37], 0
.LBB0_345:                              ;   Parent Loop BB0_141 Depth=1
                                        ;     Parent Loop BB0_335 Depth=2
                                        ; =>    This Inner Loop Header: Depth=3
	s_add_u32 s40, s0, s36
	s_addc_u32 s41, s1, s37
	global_load_ubyte v2, v3, s[40:41]
	s_add_u32 s36, s36, 1
	s_addc_u32 s37, s37, 0
	s_waitcnt vmcnt(0)
	v_and_b32_e32 v2, 0xffff, v2
	v_lshlrev_b64 v[6:7], s34, v[2:3]
	s_add_u32 s34, s34, 8
	s_addc_u32 s35, s35, 0
	v_or_b32_e32 v22, v6, v22
	s_cmp_lg_u32 s38, s36
	v_or_b32_e32 v23, v7, v23
	s_cbranch_scc1 .LBB0_345
	s_branch .LBB0_348
.LBB0_346:                              ;   in Loop: Header=BB0_335 Depth=2
                                        ; implicit-def: $vgpr22_vgpr23
                                        ; implicit-def: $sgpr39
	s_branch .LBB0_349
.LBB0_347:                              ;   in Loop: Header=BB0_335 Depth=2
	v_pk_mov_b32 v[22:23], 0, 0
.LBB0_348:                              ;   in Loop: Header=BB0_335 Depth=2
	s_mov_b32 s39, 0
	s_cbranch_execnz .LBB0_350
.LBB0_349:                              ;   in Loop: Header=BB0_335 Depth=2
	global_load_dwordx2 v[22:23], v3, s[0:1]
	s_add_i32 s39, s38, -8
	s_add_u32 s0, s0, 8
	s_addc_u32 s1, s1, 0
.LBB0_350:                              ;   in Loop: Header=BB0_335 Depth=2
	s_cmp_gt_u32 s39, 7
	s_cbranch_scc1 .LBB0_354
; %bb.351:                              ;   in Loop: Header=BB0_335 Depth=2
	s_cmp_eq_u32 s39, 0
	s_cbranch_scc1 .LBB0_355
; %bb.352:                              ;   in Loop: Header=BB0_335 Depth=2
	s_mov_b64 s[34:35], 0
	v_pk_mov_b32 v[24:25], 0, 0
	s_mov_b64 s[36:37], 0
.LBB0_353:                              ;   Parent Loop BB0_141 Depth=1
                                        ;     Parent Loop BB0_335 Depth=2
                                        ; =>    This Inner Loop Header: Depth=3
	s_add_u32 s40, s0, s36
	s_addc_u32 s41, s1, s37
	global_load_ubyte v2, v3, s[40:41]
	s_add_u32 s36, s36, 1
	s_addc_u32 s37, s37, 0
	s_waitcnt vmcnt(0)
	v_and_b32_e32 v2, 0xffff, v2
	v_lshlrev_b64 v[6:7], s34, v[2:3]
	s_add_u32 s34, s34, 8
	s_addc_u32 s35, s35, 0
	v_or_b32_e32 v24, v6, v24
	s_cmp_lg_u32 s39, s36
	v_or_b32_e32 v25, v7, v25
	s_cbranch_scc1 .LBB0_353
	s_branch .LBB0_356
.LBB0_354:                              ;   in Loop: Header=BB0_335 Depth=2
                                        ; implicit-def: $sgpr38
	s_branch .LBB0_357
.LBB0_355:                              ;   in Loop: Header=BB0_335 Depth=2
	v_pk_mov_b32 v[24:25], 0, 0
.LBB0_356:                              ;   in Loop: Header=BB0_335 Depth=2
	s_mov_b32 s38, 0
	s_cbranch_execnz .LBB0_358
.LBB0_357:                              ;   in Loop: Header=BB0_335 Depth=2
	global_load_dwordx2 v[24:25], v3, s[0:1]
	s_add_i32 s38, s39, -8
	s_add_u32 s0, s0, 8
	s_addc_u32 s1, s1, 0
.LBB0_358:                              ;   in Loop: Header=BB0_335 Depth=2
	s_cmp_gt_u32 s38, 7
	s_cbranch_scc1 .LBB0_362
; %bb.359:                              ;   in Loop: Header=BB0_335 Depth=2
	s_cmp_eq_u32 s38, 0
	s_cbranch_scc1 .LBB0_363
; %bb.360:                              ;   in Loop: Header=BB0_335 Depth=2
	s_mov_b64 s[34:35], 0
	v_pk_mov_b32 v[26:27], 0, 0
	s_mov_b64 s[36:37], 0
.LBB0_361:                              ;   Parent Loop BB0_141 Depth=1
                                        ;     Parent Loop BB0_335 Depth=2
                                        ; =>    This Inner Loop Header: Depth=3
	s_add_u32 s40, s0, s36
	s_addc_u32 s41, s1, s37
	global_load_ubyte v2, v3, s[40:41]
	s_add_u32 s36, s36, 1
	s_addc_u32 s37, s37, 0
	s_waitcnt vmcnt(0)
	v_and_b32_e32 v2, 0xffff, v2
	v_lshlrev_b64 v[6:7], s34, v[2:3]
	s_add_u32 s34, s34, 8
	s_addc_u32 s35, s35, 0
	v_or_b32_e32 v26, v6, v26
	s_cmp_lg_u32 s38, s36
	v_or_b32_e32 v27, v7, v27
	s_cbranch_scc1 .LBB0_361
	s_branch .LBB0_364
.LBB0_362:                              ;   in Loop: Header=BB0_335 Depth=2
                                        ; implicit-def: $vgpr26_vgpr27
                                        ; implicit-def: $sgpr39
	s_branch .LBB0_365
.LBB0_363:                              ;   in Loop: Header=BB0_335 Depth=2
	v_pk_mov_b32 v[26:27], 0, 0
.LBB0_364:                              ;   in Loop: Header=BB0_335 Depth=2
	s_mov_b32 s39, 0
	s_cbranch_execnz .LBB0_366
.LBB0_365:                              ;   in Loop: Header=BB0_335 Depth=2
	global_load_dwordx2 v[26:27], v3, s[0:1]
	s_add_i32 s39, s38, -8
	s_add_u32 s0, s0, 8
	s_addc_u32 s1, s1, 0
.LBB0_366:                              ;   in Loop: Header=BB0_335 Depth=2
	s_cmp_gt_u32 s39, 7
	s_cbranch_scc1 .LBB0_370
; %bb.367:                              ;   in Loop: Header=BB0_335 Depth=2
	s_cmp_eq_u32 s39, 0
	s_cbranch_scc1 .LBB0_371
; %bb.368:                              ;   in Loop: Header=BB0_335 Depth=2
	s_mov_b64 s[34:35], 0
	v_pk_mov_b32 v[28:29], 0, 0
	s_mov_b64 s[36:37], 0
.LBB0_369:                              ;   Parent Loop BB0_141 Depth=1
                                        ;     Parent Loop BB0_335 Depth=2
                                        ; =>    This Inner Loop Header: Depth=3
	s_add_u32 s40, s0, s36
	s_addc_u32 s41, s1, s37
	global_load_ubyte v2, v3, s[40:41]
	s_add_u32 s36, s36, 1
	s_addc_u32 s37, s37, 0
	s_waitcnt vmcnt(0)
	v_and_b32_e32 v2, 0xffff, v2
	v_lshlrev_b64 v[6:7], s34, v[2:3]
	s_add_u32 s34, s34, 8
	s_addc_u32 s35, s35, 0
	v_or_b32_e32 v28, v6, v28
	s_cmp_lg_u32 s39, s36
	v_or_b32_e32 v29, v7, v29
	s_cbranch_scc1 .LBB0_369
	s_branch .LBB0_372
.LBB0_370:                              ;   in Loop: Header=BB0_335 Depth=2
                                        ; implicit-def: $sgpr38
	s_branch .LBB0_373
.LBB0_371:                              ;   in Loop: Header=BB0_335 Depth=2
	v_pk_mov_b32 v[28:29], 0, 0
.LBB0_372:                              ;   in Loop: Header=BB0_335 Depth=2
	s_mov_b32 s38, 0
	s_cbranch_execnz .LBB0_374
.LBB0_373:                              ;   in Loop: Header=BB0_335 Depth=2
	global_load_dwordx2 v[28:29], v3, s[0:1]
	s_add_i32 s38, s39, -8
	s_add_u32 s0, s0, 8
	s_addc_u32 s1, s1, 0
.LBB0_374:                              ;   in Loop: Header=BB0_335 Depth=2
	s_cmp_gt_u32 s38, 7
	s_cbranch_scc1 .LBB0_378
; %bb.375:                              ;   in Loop: Header=BB0_335 Depth=2
	s_cmp_eq_u32 s38, 0
	s_cbranch_scc1 .LBB0_379
; %bb.376:                              ;   in Loop: Header=BB0_335 Depth=2
	s_mov_b64 s[34:35], 0
	v_pk_mov_b32 v[30:31], 0, 0
	s_mov_b64 s[36:37], 0
.LBB0_377:                              ;   Parent Loop BB0_141 Depth=1
                                        ;     Parent Loop BB0_335 Depth=2
                                        ; =>    This Inner Loop Header: Depth=3
	s_add_u32 s40, s0, s36
	s_addc_u32 s41, s1, s37
	global_load_ubyte v2, v3, s[40:41]
	s_add_u32 s36, s36, 1
	s_addc_u32 s37, s37, 0
	s_waitcnt vmcnt(0)
	v_and_b32_e32 v2, 0xffff, v2
	v_lshlrev_b64 v[6:7], s34, v[2:3]
	s_add_u32 s34, s34, 8
	s_addc_u32 s35, s35, 0
	v_or_b32_e32 v30, v6, v30
	s_cmp_lg_u32 s38, s36
	v_or_b32_e32 v31, v7, v31
	s_cbranch_scc1 .LBB0_377
	s_branch .LBB0_380
.LBB0_378:                              ;   in Loop: Header=BB0_335 Depth=2
                                        ; implicit-def: $vgpr30_vgpr31
                                        ; implicit-def: $sgpr39
	s_branch .LBB0_381
.LBB0_379:                              ;   in Loop: Header=BB0_335 Depth=2
	v_pk_mov_b32 v[30:31], 0, 0
.LBB0_380:                              ;   in Loop: Header=BB0_335 Depth=2
	s_mov_b32 s39, 0
	s_cbranch_execnz .LBB0_382
.LBB0_381:                              ;   in Loop: Header=BB0_335 Depth=2
	global_load_dwordx2 v[30:31], v3, s[0:1]
	s_add_i32 s39, s38, -8
	s_add_u32 s0, s0, 8
	s_addc_u32 s1, s1, 0
.LBB0_382:                              ;   in Loop: Header=BB0_335 Depth=2
	s_cmp_gt_u32 s39, 7
	s_cbranch_scc1 .LBB0_386
; %bb.383:                              ;   in Loop: Header=BB0_335 Depth=2
	s_cmp_eq_u32 s39, 0
	s_cbranch_scc1 .LBB0_387
; %bb.384:                              ;   in Loop: Header=BB0_335 Depth=2
	s_mov_b64 s[34:35], 0
	v_pk_mov_b32 v[32:33], 0, 0
	s_mov_b64 s[36:37], s[0:1]
.LBB0_385:                              ;   Parent Loop BB0_141 Depth=1
                                        ;     Parent Loop BB0_335 Depth=2
                                        ; =>    This Inner Loop Header: Depth=3
	global_load_ubyte v2, v3, s[36:37]
	s_add_i32 s39, s39, -1
	s_waitcnt vmcnt(0)
	v_and_b32_e32 v2, 0xffff, v2
	v_lshlrev_b64 v[6:7], s34, v[2:3]
	s_add_u32 s34, s34, 8
	s_addc_u32 s35, s35, 0
	s_add_u32 s36, s36, 1
	s_addc_u32 s37, s37, 0
	v_or_b32_e32 v32, v6, v32
	s_cmp_lg_u32 s39, 0
	v_or_b32_e32 v33, v7, v33
	s_cbranch_scc1 .LBB0_385
	s_branch .LBB0_388
.LBB0_386:                              ;   in Loop: Header=BB0_335 Depth=2
	s_branch .LBB0_389
.LBB0_387:                              ;   in Loop: Header=BB0_335 Depth=2
	v_pk_mov_b32 v[32:33], 0, 0
.LBB0_388:                              ;   in Loop: Header=BB0_335 Depth=2
	s_cbranch_execnz .LBB0_390
.LBB0_389:                              ;   in Loop: Header=BB0_335 Depth=2
	global_load_dwordx2 v[32:33], v3, s[0:1]
.LBB0_390:                              ;   in Loop: Header=BB0_335 Depth=2
	v_readfirstlane_b32 s0, v42
	v_cmp_eq_u32_e64 s[0:1], s0, v42
	v_pk_mov_b32 v[6:7], 0, 0
	s_and_saveexec_b64 s[34:35], s[0:1]
	s_cbranch_execz .LBB0_396
; %bb.391:                              ;   in Loop: Header=BB0_335 Depth=2
	global_load_dwordx2 v[36:37], v3, s[2:3] offset:24 glc
	s_waitcnt vmcnt(0)
	buffer_invl2
	buffer_wbinvl1_vol
	global_load_dwordx2 v[6:7], v3, s[2:3] offset:40
	global_load_dwordx2 v[34:35], v3, s[2:3]
	s_waitcnt vmcnt(1)
	v_and_b32_e32 v2, v6, v36
	v_and_b32_e32 v5, v7, v37
	v_mul_lo_u32 v5, v5, 24
	v_mul_hi_u32 v6, v2, 24
	v_mul_lo_u32 v2, v2, 24
	v_add_u32_e32 v5, v6, v5
	s_waitcnt vmcnt(0)
	v_add_co_u32_e32 v6, vcc, v34, v2
	v_addc_co_u32_e32 v7, vcc, v35, v5, vcc
	global_load_dwordx2 v[34:35], v[6:7], off glc
	s_waitcnt vmcnt(0)
	global_atomic_cmpswap_x2 v[6:7], v3, v[34:37], s[2:3] offset:24 glc
	s_waitcnt vmcnt(0)
	buffer_invl2
	buffer_wbinvl1_vol
	v_cmp_ne_u64_e32 vcc, v[6:7], v[36:37]
	s_and_saveexec_b64 s[36:37], vcc
	s_cbranch_execz .LBB0_395
; %bb.392:                              ;   in Loop: Header=BB0_335 Depth=2
	s_mov_b64 s[38:39], 0
.LBB0_393:                              ;   Parent Loop BB0_141 Depth=1
                                        ;     Parent Loop BB0_335 Depth=2
                                        ; =>    This Inner Loop Header: Depth=3
	s_sleep 1
	global_load_dwordx2 v[34:35], v3, s[2:3] offset:40
	global_load_dwordx2 v[40:41], v3, s[2:3]
	v_pk_mov_b32 v[36:37], v[6:7], v[6:7] op_sel:[0,1]
	s_waitcnt vmcnt(1)
	v_and_b32_e32 v2, v34, v36
	s_waitcnt vmcnt(0)
	v_mad_u64_u32 v[6:7], s[40:41], v2, 24, v[40:41]
	v_and_b32_e32 v5, v35, v37
	v_mov_b32_e32 v2, v7
	v_mad_u64_u32 v[34:35], s[40:41], v5, 24, v[2:3]
	v_mov_b32_e32 v7, v34
	global_load_dwordx2 v[34:35], v[6:7], off glc
	s_waitcnt vmcnt(0)
	global_atomic_cmpswap_x2 v[6:7], v3, v[34:37], s[2:3] offset:24 glc
	s_waitcnt vmcnt(0)
	buffer_invl2
	buffer_wbinvl1_vol
	v_cmp_eq_u64_e32 vcc, v[6:7], v[36:37]
	s_or_b64 s[38:39], vcc, s[38:39]
	s_andn2_b64 exec, exec, s[38:39]
	s_cbranch_execnz .LBB0_393
; %bb.394:                              ;   in Loop: Header=BB0_335 Depth=2
	s_or_b64 exec, exec, s[38:39]
.LBB0_395:                              ;   in Loop: Header=BB0_335 Depth=2
	s_or_b64 exec, exec, s[36:37]
.LBB0_396:                              ;   in Loop: Header=BB0_335 Depth=2
	s_or_b64 exec, exec, s[34:35]
	global_load_dwordx2 v[40:41], v3, s[2:3] offset:40
	global_load_dwordx4 v[34:37], v3, s[2:3]
	v_readfirstlane_b32 s34, v6
	v_readfirstlane_b32 s35, v7
	s_mov_b64 s[36:37], exec
	s_waitcnt vmcnt(1)
	v_readfirstlane_b32 s38, v40
	v_readfirstlane_b32 s39, v41
	s_and_b64 s[38:39], s[34:35], s[38:39]
	s_mul_i32 s40, s39, 24
	s_mul_hi_u32 s41, s38, 24
	s_mul_i32 s42, s38, 24
	s_add_i32 s40, s41, s40
	v_mov_b32_e32 v2, s40
	s_waitcnt vmcnt(0)
	v_add_co_u32_e32 v40, vcc, s42, v34
	v_addc_co_u32_e32 v41, vcc, v35, v2, vcc
	s_and_saveexec_b64 s[40:41], s[0:1]
	s_cbranch_execz .LBB0_398
; %bb.397:                              ;   in Loop: Header=BB0_335 Depth=2
	v_pk_mov_b32 v[6:7], s[36:37], s[36:37] op_sel:[0,1]
	global_store_dwordx4 v[40:41], v[6:9], off offset:8
.LBB0_398:                              ;   in Loop: Header=BB0_335 Depth=2
	s_or_b64 exec, exec, s[40:41]
	s_lshl_b64 s[36:37], s[38:39], 12
	v_mov_b32_e32 v2, s37
	v_add_co_u32_e32 v6, vcc, s36, v36
	v_addc_co_u32_e32 v5, vcc, v37, v2, vcc
	v_or_b32_e32 v2, 0, v19
	v_or_b32_e32 v7, v18, v38
	v_cmp_gt_u64_e64 vcc, s[28:29], 56
	s_lshl_b32 s36, s30, 2
	v_cndmask_b32_e32 v19, v2, v19, vcc
	v_cndmask_b32_e32 v2, v7, v18, vcc
	s_add_i32 s36, s36, 28
	s_and_b32 s36, s36, 0x1e0
	v_and_b32_e32 v2, 0xffffff1f, v2
	v_or_b32_e32 v18, s36, v2
	v_readfirstlane_b32 s36, v6
	v_readfirstlane_b32 s37, v5
	s_nop 4
	global_store_dwordx4 v43, v[18:21], s[36:37]
	global_store_dwordx4 v43, v[22:25], s[36:37] offset:16
	global_store_dwordx4 v43, v[26:29], s[36:37] offset:32
	;; [unrolled: 1-line block ×3, first 2 shown]
	s_and_saveexec_b64 s[36:37], s[0:1]
	s_cbranch_execz .LBB0_406
; %bb.399:                              ;   in Loop: Header=BB0_335 Depth=2
	global_load_dwordx2 v[26:27], v3, s[2:3] offset:32 glc
	global_load_dwordx2 v[18:19], v3, s[2:3] offset:40
	v_mov_b32_e32 v24, s34
	v_mov_b32_e32 v25, s35
	s_waitcnt vmcnt(0)
	v_readfirstlane_b32 s38, v18
	v_readfirstlane_b32 s39, v19
	s_and_b64 s[38:39], s[38:39], s[34:35]
	s_mul_i32 s39, s39, 24
	s_mul_hi_u32 s40, s38, 24
	s_mul_i32 s38, s38, 24
	s_add_i32 s39, s40, s39
	v_mov_b32_e32 v2, s39
	v_add_co_u32_e32 v22, vcc, s38, v34
	v_addc_co_u32_e32 v23, vcc, v35, v2, vcc
	global_store_dwordx2 v[22:23], v[26:27], off
	buffer_wbl2
	s_waitcnt vmcnt(0)
	global_atomic_cmpswap_x2 v[20:21], v3, v[24:27], s[2:3] offset:32 glc
	s_waitcnt vmcnt(0)
	v_cmp_ne_u64_e32 vcc, v[20:21], v[26:27]
	s_and_saveexec_b64 s[38:39], vcc
	s_cbranch_execz .LBB0_402
; %bb.400:                              ;   in Loop: Header=BB0_335 Depth=2
	s_mov_b64 s[40:41], 0
.LBB0_401:                              ;   Parent Loop BB0_141 Depth=1
                                        ;     Parent Loop BB0_335 Depth=2
                                        ; =>    This Inner Loop Header: Depth=3
	s_sleep 1
	global_store_dwordx2 v[22:23], v[20:21], off
	v_mov_b32_e32 v18, s34
	v_mov_b32_e32 v19, s35
	buffer_wbl2
	s_waitcnt vmcnt(0)
	global_atomic_cmpswap_x2 v[18:19], v3, v[18:21], s[2:3] offset:32 glc
	s_waitcnt vmcnt(0)
	v_cmp_eq_u64_e32 vcc, v[18:19], v[20:21]
	s_or_b64 s[40:41], vcc, s[40:41]
	v_pk_mov_b32 v[20:21], v[18:19], v[18:19] op_sel:[0,1]
	s_andn2_b64 exec, exec, s[40:41]
	s_cbranch_execnz .LBB0_401
.LBB0_402:                              ;   in Loop: Header=BB0_335 Depth=2
	s_or_b64 exec, exec, s[38:39]
	global_load_dwordx2 v[18:19], v3, s[2:3] offset:16
	s_mov_b64 s[40:41], exec
	v_mbcnt_lo_u32_b32 v2, s40, 0
	v_mbcnt_hi_u32_b32 v2, s41, v2
	v_cmp_eq_u32_e32 vcc, 0, v2
	s_and_saveexec_b64 s[38:39], vcc
	s_cbranch_execz .LBB0_404
; %bb.403:                              ;   in Loop: Header=BB0_335 Depth=2
	s_bcnt1_i32_b64 s40, s[40:41]
	v_mov_b32_e32 v2, s40
	buffer_wbl2
	s_waitcnt vmcnt(0)
	global_atomic_add_x2 v[18:19], v[2:3], off offset:8
.LBB0_404:                              ;   in Loop: Header=BB0_335 Depth=2
	s_or_b64 exec, exec, s[38:39]
	s_waitcnt vmcnt(0)
	global_load_dwordx2 v[20:21], v[18:19], off offset:16
	s_waitcnt vmcnt(0)
	v_cmp_eq_u64_e32 vcc, 0, v[20:21]
	s_cbranch_vccnz .LBB0_406
; %bb.405:                              ;   in Loop: Header=BB0_335 Depth=2
	global_load_dword v2, v[18:19], off offset:24
	buffer_wbl2
	s_waitcnt vmcnt(0)
	global_store_dwordx2 v[20:21], v[2:3], off
	v_and_b32_e32 v2, 0xffffff, v2
	v_readfirstlane_b32 m0, v2
	s_sendmsg sendmsg(MSG_INTERRUPT)
.LBB0_406:                              ;   in Loop: Header=BB0_335 Depth=2
	s_or_b64 exec, exec, s[36:37]
	v_add_co_u32_e32 v6, vcc, v6, v43
	v_addc_co_u32_e32 v7, vcc, 0, v5, vcc
	s_branch .LBB0_410
.LBB0_407:                              ;   in Loop: Header=BB0_410 Depth=3
	s_or_b64 exec, exec, s[36:37]
	v_readfirstlane_b32 s36, v2
	s_cmp_eq_u32 s36, 0
	s_cbranch_scc1 .LBB0_409
; %bb.408:                              ;   in Loop: Header=BB0_410 Depth=3
	s_sleep 1
	s_cbranch_execnz .LBB0_410
	s_branch .LBB0_412
.LBB0_409:                              ;   in Loop: Header=BB0_335 Depth=2
	s_branch .LBB0_412
.LBB0_410:                              ;   Parent Loop BB0_141 Depth=1
                                        ;     Parent Loop BB0_335 Depth=2
                                        ; =>    This Inner Loop Header: Depth=3
	v_mov_b32_e32 v2, 1
	s_and_saveexec_b64 s[36:37], s[0:1]
	s_cbranch_execz .LBB0_407
; %bb.411:                              ;   in Loop: Header=BB0_410 Depth=3
	global_load_dword v2, v[40:41], off offset:20 glc
	s_waitcnt vmcnt(0)
	buffer_invl2
	buffer_wbinvl1_vol
	v_and_b32_e32 v2, 1, v2
	s_branch .LBB0_407
.LBB0_412:                              ;   in Loop: Header=BB0_335 Depth=2
	global_load_dwordx4 v[18:21], v[6:7], off
	s_and_saveexec_b64 s[36:37], s[0:1]
	s_cbranch_execz .LBB0_334
; %bb.413:                              ;   in Loop: Header=BB0_335 Depth=2
	global_load_dwordx2 v[6:7], v3, s[2:3] offset:40
	global_load_dwordx2 v[24:25], v3, s[2:3] offset:24 glc
	global_load_dwordx2 v[26:27], v3, s[2:3]
	v_mov_b32_e32 v2, s35
	s_waitcnt vmcnt(2)
	v_add_co_u32_e32 v5, vcc, 1, v6
	v_addc_co_u32_e32 v23, vcc, 0, v7, vcc
	v_add_co_u32_e32 v20, vcc, s34, v5
	v_addc_co_u32_e32 v21, vcc, v23, v2, vcc
	v_cmp_eq_u64_e32 vcc, 0, v[20:21]
	v_cndmask_b32_e32 v21, v21, v23, vcc
	v_cndmask_b32_e32 v20, v20, v5, vcc
	v_and_b32_e32 v2, v21, v7
	v_and_b32_e32 v5, v20, v6
	v_mul_lo_u32 v2, v2, 24
	v_mul_hi_u32 v6, v5, 24
	v_mul_lo_u32 v5, v5, 24
	v_add_u32_e32 v2, v6, v2
	s_waitcnt vmcnt(0)
	v_add_co_u32_e32 v6, vcc, v26, v5
	v_addc_co_u32_e32 v7, vcc, v27, v2, vcc
	v_mov_b32_e32 v22, v24
	global_store_dwordx2 v[6:7], v[24:25], off
	v_mov_b32_e32 v23, v25
	buffer_wbl2
	s_waitcnt vmcnt(0)
	global_atomic_cmpswap_x2 v[22:23], v3, v[20:23], s[2:3] offset:24 glc
	s_waitcnt vmcnt(0)
	v_cmp_ne_u64_e32 vcc, v[22:23], v[24:25]
	s_and_b64 exec, exec, vcc
	s_cbranch_execz .LBB0_334
; %bb.414:                              ;   in Loop: Header=BB0_335 Depth=2
	s_mov_b64 s[0:1], 0
.LBB0_415:                              ;   Parent Loop BB0_141 Depth=1
                                        ;     Parent Loop BB0_335 Depth=2
                                        ; =>    This Inner Loop Header: Depth=3
	s_sleep 1
	global_store_dwordx2 v[6:7], v[22:23], off
	buffer_wbl2
	s_waitcnt vmcnt(0)
	global_atomic_cmpswap_x2 v[24:25], v3, v[20:23], s[2:3] offset:24 glc
	s_waitcnt vmcnt(0)
	v_cmp_eq_u64_e32 vcc, v[24:25], v[22:23]
	s_or_b64 s[0:1], vcc, s[0:1]
	v_pk_mov_b32 v[22:23], v[24:25], v[24:25] op_sel:[0,1]
	s_andn2_b64 exec, exec, s[0:1]
	s_cbranch_execnz .LBB0_415
	s_branch .LBB0_334
.LBB0_416:                              ;   in Loop: Header=BB0_141 Depth=1
	s_branch .LBB0_445
.LBB0_417:                              ;   in Loop: Header=BB0_141 Depth=1
                                        ; implicit-def: $vgpr18_vgpr19
	s_cbranch_execz .LBB0_445
; %bb.418:                              ;   in Loop: Header=BB0_141 Depth=1
	v_readfirstlane_b32 s0, v42
	v_cmp_eq_u32_e64 s[0:1], s0, v42
	v_pk_mov_b32 v[6:7], 0, 0
	s_and_saveexec_b64 s[26:27], s[0:1]
	s_cbranch_execz .LBB0_424
; %bb.419:                              ;   in Loop: Header=BB0_141 Depth=1
	global_load_dwordx2 v[20:21], v3, s[2:3] offset:24 glc
	s_waitcnt vmcnt(0)
	buffer_invl2
	buffer_wbinvl1_vol
	global_load_dwordx2 v[6:7], v3, s[2:3] offset:40
	global_load_dwordx2 v[18:19], v3, s[2:3]
	s_waitcnt vmcnt(1)
	v_and_b32_e32 v2, v6, v20
	v_and_b32_e32 v5, v7, v21
	v_mul_lo_u32 v5, v5, 24
	v_mul_hi_u32 v6, v2, 24
	v_mul_lo_u32 v2, v2, 24
	v_add_u32_e32 v5, v6, v5
	s_waitcnt vmcnt(0)
	v_add_co_u32_e32 v6, vcc, v18, v2
	v_addc_co_u32_e32 v7, vcc, v19, v5, vcc
	global_load_dwordx2 v[18:19], v[6:7], off glc
	s_waitcnt vmcnt(0)
	global_atomic_cmpswap_x2 v[6:7], v3, v[18:21], s[2:3] offset:24 glc
	s_waitcnt vmcnt(0)
	buffer_invl2
	buffer_wbinvl1_vol
	v_cmp_ne_u64_e32 vcc, v[6:7], v[20:21]
	s_and_saveexec_b64 s[28:29], vcc
	s_cbranch_execz .LBB0_423
; %bb.420:                              ;   in Loop: Header=BB0_141 Depth=1
	s_mov_b64 s[30:31], 0
.LBB0_421:                              ;   Parent Loop BB0_141 Depth=1
                                        ; =>  This Inner Loop Header: Depth=2
	s_sleep 1
	global_load_dwordx2 v[18:19], v3, s[2:3] offset:40
	global_load_dwordx2 v[22:23], v3, s[2:3]
	v_pk_mov_b32 v[20:21], v[6:7], v[6:7] op_sel:[0,1]
	s_waitcnt vmcnt(1)
	v_and_b32_e32 v2, v18, v20
	s_waitcnt vmcnt(0)
	v_mad_u64_u32 v[6:7], s[34:35], v2, 24, v[22:23]
	v_and_b32_e32 v5, v19, v21
	v_mov_b32_e32 v2, v7
	v_mad_u64_u32 v[18:19], s[34:35], v5, 24, v[2:3]
	v_mov_b32_e32 v7, v18
	global_load_dwordx2 v[18:19], v[6:7], off glc
	s_waitcnt vmcnt(0)
	global_atomic_cmpswap_x2 v[6:7], v3, v[18:21], s[2:3] offset:24 glc
	s_waitcnt vmcnt(0)
	buffer_invl2
	buffer_wbinvl1_vol
	v_cmp_eq_u64_e32 vcc, v[6:7], v[20:21]
	s_or_b64 s[30:31], vcc, s[30:31]
	s_andn2_b64 exec, exec, s[30:31]
	s_cbranch_execnz .LBB0_421
; %bb.422:                              ;   in Loop: Header=BB0_141 Depth=1
	s_or_b64 exec, exec, s[30:31]
.LBB0_423:                              ;   in Loop: Header=BB0_141 Depth=1
	s_or_b64 exec, exec, s[28:29]
.LBB0_424:                              ;   in Loop: Header=BB0_141 Depth=1
	s_or_b64 exec, exec, s[26:27]
	global_load_dwordx2 v[22:23], v3, s[2:3] offset:40
	global_load_dwordx4 v[18:21], v3, s[2:3]
	v_readfirstlane_b32 s26, v6
	v_readfirstlane_b32 s27, v7
	s_mov_b64 s[28:29], exec
	s_waitcnt vmcnt(1)
	v_readfirstlane_b32 s30, v22
	v_readfirstlane_b32 s31, v23
	s_and_b64 s[30:31], s[26:27], s[30:31]
	s_mul_i32 s34, s31, 24
	s_mul_hi_u32 s35, s30, 24
	s_mul_i32 s36, s30, 24
	s_add_i32 s34, s35, s34
	v_mov_b32_e32 v2, s34
	s_waitcnt vmcnt(0)
	v_add_co_u32_e32 v22, vcc, s36, v18
	v_addc_co_u32_e32 v23, vcc, v19, v2, vcc
	s_and_saveexec_b64 s[34:35], s[0:1]
	s_cbranch_execz .LBB0_426
; %bb.425:                              ;   in Loop: Header=BB0_141 Depth=1
	v_pk_mov_b32 v[6:7], s[28:29], s[28:29] op_sel:[0,1]
	global_store_dwordx4 v[22:23], v[6:9], off offset:8
.LBB0_426:                              ;   in Loop: Header=BB0_141 Depth=1
	s_or_b64 exec, exec, s[34:35]
	s_lshl_b64 s[28:29], s[30:31], 12
	v_mov_b32_e32 v2, s29
	v_add_co_u32_e32 v6, vcc, s28, v20
	v_addc_co_u32_e32 v5, vcc, v21, v2, vcc
	v_pk_mov_b32 v[26:27], s[6:7], s[6:7] op_sel:[0,1]
	v_and_or_b32 v0, v0, s8, 32
	v_mov_b32_e32 v2, v3
	v_readfirstlane_b32 s28, v6
	v_readfirstlane_b32 s29, v5
	v_pk_mov_b32 v[24:25], s[4:5], s[4:5] op_sel:[0,1]
	s_nop 3
	global_store_dwordx4 v43, v[0:3], s[28:29]
	global_store_dwordx4 v43, v[24:27], s[28:29] offset:16
	global_store_dwordx4 v43, v[24:27], s[28:29] offset:32
	;; [unrolled: 1-line block ×3, first 2 shown]
	s_and_saveexec_b64 s[28:29], s[0:1]
	s_cbranch_execz .LBB0_434
; %bb.427:                              ;   in Loop: Header=BB0_141 Depth=1
	global_load_dwordx2 v[26:27], v3, s[2:3] offset:32 glc
	global_load_dwordx2 v[0:1], v3, s[2:3] offset:40
	v_mov_b32_e32 v24, s26
	v_mov_b32_e32 v25, s27
	s_waitcnt vmcnt(0)
	v_readfirstlane_b32 s30, v0
	v_readfirstlane_b32 s31, v1
	s_and_b64 s[30:31], s[30:31], s[26:27]
	s_mul_i32 s31, s31, 24
	s_mul_hi_u32 s34, s30, 24
	s_mul_i32 s30, s30, 24
	s_add_i32 s31, s34, s31
	v_mov_b32_e32 v1, s31
	v_add_co_u32_e32 v0, vcc, s30, v18
	v_addc_co_u32_e32 v1, vcc, v19, v1, vcc
	global_store_dwordx2 v[0:1], v[26:27], off
	buffer_wbl2
	s_waitcnt vmcnt(0)
	global_atomic_cmpswap_x2 v[20:21], v3, v[24:27], s[2:3] offset:32 glc
	s_waitcnt vmcnt(0)
	v_cmp_ne_u64_e32 vcc, v[20:21], v[26:27]
	s_and_saveexec_b64 s[30:31], vcc
	s_cbranch_execz .LBB0_430
; %bb.428:                              ;   in Loop: Header=BB0_141 Depth=1
	s_mov_b64 s[34:35], 0
.LBB0_429:                              ;   Parent Loop BB0_141 Depth=1
                                        ; =>  This Inner Loop Header: Depth=2
	s_sleep 1
	global_store_dwordx2 v[0:1], v[20:21], off
	v_mov_b32_e32 v18, s26
	v_mov_b32_e32 v19, s27
	buffer_wbl2
	s_waitcnt vmcnt(0)
	global_atomic_cmpswap_x2 v[18:19], v3, v[18:21], s[2:3] offset:32 glc
	s_waitcnt vmcnt(0)
	v_cmp_eq_u64_e32 vcc, v[18:19], v[20:21]
	s_or_b64 s[34:35], vcc, s[34:35]
	v_pk_mov_b32 v[20:21], v[18:19], v[18:19] op_sel:[0,1]
	s_andn2_b64 exec, exec, s[34:35]
	s_cbranch_execnz .LBB0_429
.LBB0_430:                              ;   in Loop: Header=BB0_141 Depth=1
	s_or_b64 exec, exec, s[30:31]
	global_load_dwordx2 v[0:1], v3, s[2:3] offset:16
	s_mov_b64 s[34:35], exec
	v_mbcnt_lo_u32_b32 v2, s34, 0
	v_mbcnt_hi_u32_b32 v2, s35, v2
	v_cmp_eq_u32_e32 vcc, 0, v2
	s_and_saveexec_b64 s[30:31], vcc
	s_cbranch_execz .LBB0_432
; %bb.431:                              ;   in Loop: Header=BB0_141 Depth=1
	s_bcnt1_i32_b64 s34, s[34:35]
	v_mov_b32_e32 v2, s34
	buffer_wbl2
	s_waitcnt vmcnt(0)
	global_atomic_add_x2 v[0:1], v[2:3], off offset:8
.LBB0_432:                              ;   in Loop: Header=BB0_141 Depth=1
	s_or_b64 exec, exec, s[30:31]
	s_waitcnt vmcnt(0)
	global_load_dwordx2 v[18:19], v[0:1], off offset:16
	s_waitcnt vmcnt(0)
	v_cmp_eq_u64_e32 vcc, 0, v[18:19]
	s_cbranch_vccnz .LBB0_434
; %bb.433:                              ;   in Loop: Header=BB0_141 Depth=1
	global_load_dword v2, v[0:1], off offset:24
	s_waitcnt vmcnt(0)
	v_and_b32_e32 v0, 0xffffff, v2
	v_readfirstlane_b32 m0, v0
	buffer_wbl2
	global_store_dwordx2 v[18:19], v[2:3], off
	s_sendmsg sendmsg(MSG_INTERRUPT)
.LBB0_434:                              ;   in Loop: Header=BB0_141 Depth=1
	s_or_b64 exec, exec, s[28:29]
	v_add_co_u32_e32 v0, vcc, v6, v43
	v_addc_co_u32_e32 v1, vcc, 0, v5, vcc
	s_branch .LBB0_438
.LBB0_435:                              ;   in Loop: Header=BB0_438 Depth=2
	s_or_b64 exec, exec, s[28:29]
	v_readfirstlane_b32 s28, v2
	s_cmp_eq_u32 s28, 0
	s_cbranch_scc1 .LBB0_437
; %bb.436:                              ;   in Loop: Header=BB0_438 Depth=2
	s_sleep 1
	s_cbranch_execnz .LBB0_438
	s_branch .LBB0_440
.LBB0_437:                              ;   in Loop: Header=BB0_141 Depth=1
	s_branch .LBB0_440
.LBB0_438:                              ;   Parent Loop BB0_141 Depth=1
                                        ; =>  This Inner Loop Header: Depth=2
	v_mov_b32_e32 v2, 1
	s_and_saveexec_b64 s[28:29], s[0:1]
	s_cbranch_execz .LBB0_435
; %bb.439:                              ;   in Loop: Header=BB0_438 Depth=2
	global_load_dword v2, v[22:23], off offset:20 glc
	s_waitcnt vmcnt(0)
	buffer_invl2
	buffer_wbinvl1_vol
	v_and_b32_e32 v2, 1, v2
	s_branch .LBB0_435
.LBB0_440:                              ;   in Loop: Header=BB0_141 Depth=1
	global_load_dwordx2 v[18:19], v[0:1], off
	s_and_saveexec_b64 s[28:29], s[0:1]
	s_cbranch_execz .LBB0_444
; %bb.441:                              ;   in Loop: Header=BB0_141 Depth=1
	global_load_dwordx2 v[0:1], v3, s[2:3] offset:40
	global_load_dwordx2 v[6:7], v3, s[2:3] offset:24 glc
	global_load_dwordx2 v[24:25], v3, s[2:3]
	v_mov_b32_e32 v2, s27
	s_waitcnt vmcnt(2)
	v_add_co_u32_e32 v5, vcc, 1, v0
	v_addc_co_u32_e32 v23, vcc, 0, v1, vcc
	v_add_co_u32_e32 v20, vcc, s26, v5
	v_addc_co_u32_e32 v21, vcc, v23, v2, vcc
	v_cmp_eq_u64_e32 vcc, 0, v[20:21]
	v_cndmask_b32_e32 v21, v21, v23, vcc
	v_cndmask_b32_e32 v20, v20, v5, vcc
	v_and_b32_e32 v1, v21, v1
	v_and_b32_e32 v0, v20, v0
	v_mul_lo_u32 v1, v1, 24
	v_mul_hi_u32 v2, v0, 24
	v_mul_lo_u32 v0, v0, 24
	v_add_u32_e32 v1, v2, v1
	s_waitcnt vmcnt(0)
	v_add_co_u32_e32 v0, vcc, v24, v0
	v_addc_co_u32_e32 v1, vcc, v25, v1, vcc
	v_mov_b32_e32 v22, v6
	global_store_dwordx2 v[0:1], v[6:7], off
	v_mov_b32_e32 v23, v7
	buffer_wbl2
	s_waitcnt vmcnt(0)
	global_atomic_cmpswap_x2 v[22:23], v3, v[20:23], s[2:3] offset:24 glc
	s_waitcnt vmcnt(0)
	v_cmp_ne_u64_e32 vcc, v[22:23], v[6:7]
	s_and_b64 exec, exec, vcc
	s_cbranch_execz .LBB0_444
; %bb.442:                              ;   in Loop: Header=BB0_141 Depth=1
	s_mov_b64 s[0:1], 0
.LBB0_443:                              ;   Parent Loop BB0_141 Depth=1
                                        ; =>  This Inner Loop Header: Depth=2
	s_sleep 1
	global_store_dwordx2 v[0:1], v[22:23], off
	buffer_wbl2
	s_waitcnt vmcnt(0)
	global_atomic_cmpswap_x2 v[6:7], v3, v[20:23], s[2:3] offset:24 glc
	s_waitcnt vmcnt(0)
	v_cmp_eq_u64_e32 vcc, v[6:7], v[22:23]
	s_or_b64 s[0:1], vcc, s[0:1]
	v_pk_mov_b32 v[22:23], v[6:7], v[6:7] op_sel:[0,1]
	s_andn2_b64 exec, exec, s[0:1]
	s_cbranch_execnz .LBB0_443
.LBB0_444:                              ;   in Loop: Header=BB0_141 Depth=1
	s_or_b64 exec, exec, s[28:29]
.LBB0_445:                              ;   in Loop: Header=BB0_141 Depth=1
	s_and_b32 s28, s33, 1
	s_getpc_b64 s[0:1]
	s_add_u32 s0, s0, .str.4@rel32@lo+4
	s_addc_u32 s1, s1, .str.4@rel32@hi+12
	s_getpc_b64 s[26:27]
	s_add_u32 s26, s26, .str.3@rel32@lo+4
	s_addc_u32 s27, s27, .str.3@rel32@hi+12
	s_cmp_eq_u32 s28, 0
	s_cselect_b32 s27, s1, s27
	s_cselect_b32 s26, s0, s26
	s_cmp_lg_u64 s[26:27], 0
	s_cselect_b64 s[0:1], -1, 0
	s_cmp_eq_u64 s[26:27], 0
	s_mov_b64 s[28:29], 0
	s_cbranch_scc1 .LBB0_449
; %bb.446:                              ;   in Loop: Header=BB0_141 Depth=1
	s_add_u32 s28, s26, -1
	s_addc_u32 s29, s27, -1
.LBB0_447:                              ;   Parent Loop BB0_141 Depth=1
                                        ; =>  This Inner Loop Header: Depth=2
	global_load_ubyte v0, v3, s[28:29] offset:1
	s_add_u32 s30, s28, 1
	s_addc_u32 s31, s29, 0
	s_mov_b64 s[28:29], s[30:31]
	s_waitcnt vmcnt(0)
	v_cmp_ne_u16_e32 vcc, 0, v0
	s_cbranch_vccnz .LBB0_447
; %bb.448:                              ;   in Loop: Header=BB0_141 Depth=1
	s_sub_u32 s28, s30, s26
	s_subb_u32 s29, s31, s27
	s_add_u32 s28, s28, 1
	s_addc_u32 s29, s29, 0
.LBB0_449:                              ;   in Loop: Header=BB0_141 Depth=1
	s_and_b64 vcc, exec, s[0:1]
	s_cbranch_vccz .LBB0_534
; %bb.450:                              ;   in Loop: Header=BB0_141 Depth=1
	s_waitcnt vmcnt(0)
	v_and_b32_e32 v0, 2, v18
	v_and_b32_e32 v20, -3, v18
	v_mov_b32_e32 v21, v19
	s_branch .LBB0_452
.LBB0_451:                              ;   in Loop: Header=BB0_452 Depth=2
	s_or_b64 exec, exec, s[36:37]
	s_sub_u32 s28, s28, s30
	s_subb_u32 s29, s29, s31
	s_add_u32 s26, s26, s30
	s_addc_u32 s27, s27, s31
	s_cmp_lg_u64 s[28:29], 0
	s_cbranch_scc0 .LBB0_533
.LBB0_452:                              ;   Parent Loop BB0_141 Depth=1
                                        ; =>  This Loop Header: Depth=2
                                        ;       Child Loop BB0_455 Depth 3
                                        ;       Child Loop BB0_462 Depth 3
	;; [unrolled: 1-line block ×11, first 2 shown]
	v_cmp_lt_u64_e64 s[0:1], s[28:29], 56
	s_and_b64 s[0:1], s[0:1], exec
	v_cmp_gt_u64_e64 s[0:1], s[28:29], 7
	s_cselect_b32 s31, s29, 0
	s_cselect_b32 s30, s28, 56
	s_and_b64 vcc, exec, s[0:1]
	s_cbranch_vccnz .LBB0_457
; %bb.453:                              ;   in Loop: Header=BB0_452 Depth=2
	s_mov_b64 s[0:1], 0
	s_cmp_eq_u64 s[28:29], 0
	s_waitcnt vmcnt(0)
	v_pk_mov_b32 v[22:23], 0, 0
	s_cbranch_scc1 .LBB0_456
; %bb.454:                              ;   in Loop: Header=BB0_452 Depth=2
	s_lshl_b64 s[34:35], s[30:31], 3
	s_mov_b64 s[36:37], 0
	v_pk_mov_b32 v[22:23], 0, 0
	s_mov_b64 s[38:39], s[26:27]
.LBB0_455:                              ;   Parent Loop BB0_141 Depth=1
                                        ;     Parent Loop BB0_452 Depth=2
                                        ; =>    This Inner Loop Header: Depth=3
	global_load_ubyte v1, v3, s[38:39]
	s_waitcnt vmcnt(0)
	v_and_b32_e32 v2, 0xffff, v1
	v_lshlrev_b64 v[6:7], s36, v[2:3]
	s_add_u32 s36, s36, 8
	s_addc_u32 s37, s37, 0
	s_add_u32 s38, s38, 1
	s_addc_u32 s39, s39, 0
	v_or_b32_e32 v22, v6, v22
	s_cmp_lg_u32 s34, s36
	v_or_b32_e32 v23, v7, v23
	s_cbranch_scc1 .LBB0_455
.LBB0_456:                              ;   in Loop: Header=BB0_452 Depth=2
	s_mov_b32 s38, 0
	s_andn2_b64 vcc, exec, s[0:1]
	s_mov_b64 s[0:1], s[26:27]
	s_cbranch_vccz .LBB0_458
	s_branch .LBB0_459
.LBB0_457:                              ;   in Loop: Header=BB0_452 Depth=2
                                        ; implicit-def: $vgpr22_vgpr23
                                        ; implicit-def: $sgpr38
	s_mov_b64 s[0:1], s[26:27]
.LBB0_458:                              ;   in Loop: Header=BB0_452 Depth=2
	global_load_dwordx2 v[22:23], v3, s[26:27]
	s_add_i32 s38, s30, -8
	s_add_u32 s0, s26, 8
	s_addc_u32 s1, s27, 0
.LBB0_459:                              ;   in Loop: Header=BB0_452 Depth=2
	s_cmp_gt_u32 s38, 7
	s_cbranch_scc1 .LBB0_463
; %bb.460:                              ;   in Loop: Header=BB0_452 Depth=2
	s_cmp_eq_u32 s38, 0
	s_cbranch_scc1 .LBB0_464
; %bb.461:                              ;   in Loop: Header=BB0_452 Depth=2
	s_mov_b64 s[34:35], 0
	v_pk_mov_b32 v[24:25], 0, 0
	s_mov_b64 s[36:37], 0
.LBB0_462:                              ;   Parent Loop BB0_141 Depth=1
                                        ;     Parent Loop BB0_452 Depth=2
                                        ; =>    This Inner Loop Header: Depth=3
	s_add_u32 s40, s0, s36
	s_addc_u32 s41, s1, s37
	global_load_ubyte v1, v3, s[40:41]
	s_add_u32 s36, s36, 1
	s_addc_u32 s37, s37, 0
	s_waitcnt vmcnt(0)
	v_and_b32_e32 v2, 0xffff, v1
	v_lshlrev_b64 v[6:7], s34, v[2:3]
	s_add_u32 s34, s34, 8
	s_addc_u32 s35, s35, 0
	v_or_b32_e32 v24, v6, v24
	s_cmp_lg_u32 s38, s36
	v_or_b32_e32 v25, v7, v25
	s_cbranch_scc1 .LBB0_462
	s_branch .LBB0_465
.LBB0_463:                              ;   in Loop: Header=BB0_452 Depth=2
                                        ; implicit-def: $vgpr24_vgpr25
                                        ; implicit-def: $sgpr39
	s_branch .LBB0_466
.LBB0_464:                              ;   in Loop: Header=BB0_452 Depth=2
	v_pk_mov_b32 v[24:25], 0, 0
.LBB0_465:                              ;   in Loop: Header=BB0_452 Depth=2
	s_mov_b32 s39, 0
	s_cbranch_execnz .LBB0_467
.LBB0_466:                              ;   in Loop: Header=BB0_452 Depth=2
	global_load_dwordx2 v[24:25], v3, s[0:1]
	s_add_i32 s39, s38, -8
	s_add_u32 s0, s0, 8
	s_addc_u32 s1, s1, 0
.LBB0_467:                              ;   in Loop: Header=BB0_452 Depth=2
	s_cmp_gt_u32 s39, 7
	s_cbranch_scc1 .LBB0_471
; %bb.468:                              ;   in Loop: Header=BB0_452 Depth=2
	s_cmp_eq_u32 s39, 0
	s_cbranch_scc1 .LBB0_472
; %bb.469:                              ;   in Loop: Header=BB0_452 Depth=2
	s_mov_b64 s[34:35], 0
	v_pk_mov_b32 v[26:27], 0, 0
	s_mov_b64 s[36:37], 0
.LBB0_470:                              ;   Parent Loop BB0_141 Depth=1
                                        ;     Parent Loop BB0_452 Depth=2
                                        ; =>    This Inner Loop Header: Depth=3
	s_add_u32 s40, s0, s36
	s_addc_u32 s41, s1, s37
	global_load_ubyte v1, v3, s[40:41]
	s_add_u32 s36, s36, 1
	s_addc_u32 s37, s37, 0
	s_waitcnt vmcnt(0)
	v_and_b32_e32 v2, 0xffff, v1
	v_lshlrev_b64 v[6:7], s34, v[2:3]
	s_add_u32 s34, s34, 8
	s_addc_u32 s35, s35, 0
	v_or_b32_e32 v26, v6, v26
	s_cmp_lg_u32 s39, s36
	v_or_b32_e32 v27, v7, v27
	s_cbranch_scc1 .LBB0_470
	s_branch .LBB0_473
.LBB0_471:                              ;   in Loop: Header=BB0_452 Depth=2
                                        ; implicit-def: $sgpr38
	s_branch .LBB0_474
.LBB0_472:                              ;   in Loop: Header=BB0_452 Depth=2
	v_pk_mov_b32 v[26:27], 0, 0
.LBB0_473:                              ;   in Loop: Header=BB0_452 Depth=2
	s_mov_b32 s38, 0
	s_cbranch_execnz .LBB0_475
.LBB0_474:                              ;   in Loop: Header=BB0_452 Depth=2
	global_load_dwordx2 v[26:27], v3, s[0:1]
	s_add_i32 s38, s39, -8
	s_add_u32 s0, s0, 8
	s_addc_u32 s1, s1, 0
.LBB0_475:                              ;   in Loop: Header=BB0_452 Depth=2
	s_cmp_gt_u32 s38, 7
	s_cbranch_scc1 .LBB0_479
; %bb.476:                              ;   in Loop: Header=BB0_452 Depth=2
	s_cmp_eq_u32 s38, 0
	s_cbranch_scc1 .LBB0_480
; %bb.477:                              ;   in Loop: Header=BB0_452 Depth=2
	s_mov_b64 s[34:35], 0
	v_pk_mov_b32 v[28:29], 0, 0
	s_mov_b64 s[36:37], 0
.LBB0_478:                              ;   Parent Loop BB0_141 Depth=1
                                        ;     Parent Loop BB0_452 Depth=2
                                        ; =>    This Inner Loop Header: Depth=3
	s_add_u32 s40, s0, s36
	s_addc_u32 s41, s1, s37
	global_load_ubyte v1, v3, s[40:41]
	s_add_u32 s36, s36, 1
	s_addc_u32 s37, s37, 0
	s_waitcnt vmcnt(0)
	v_and_b32_e32 v2, 0xffff, v1
	v_lshlrev_b64 v[6:7], s34, v[2:3]
	s_add_u32 s34, s34, 8
	s_addc_u32 s35, s35, 0
	v_or_b32_e32 v28, v6, v28
	s_cmp_lg_u32 s38, s36
	v_or_b32_e32 v29, v7, v29
	s_cbranch_scc1 .LBB0_478
	s_branch .LBB0_481
.LBB0_479:                              ;   in Loop: Header=BB0_452 Depth=2
                                        ; implicit-def: $vgpr28_vgpr29
                                        ; implicit-def: $sgpr39
	s_branch .LBB0_482
.LBB0_480:                              ;   in Loop: Header=BB0_452 Depth=2
	v_pk_mov_b32 v[28:29], 0, 0
.LBB0_481:                              ;   in Loop: Header=BB0_452 Depth=2
	s_mov_b32 s39, 0
	s_cbranch_execnz .LBB0_483
.LBB0_482:                              ;   in Loop: Header=BB0_452 Depth=2
	global_load_dwordx2 v[28:29], v3, s[0:1]
	s_add_i32 s39, s38, -8
	s_add_u32 s0, s0, 8
	s_addc_u32 s1, s1, 0
.LBB0_483:                              ;   in Loop: Header=BB0_452 Depth=2
	s_cmp_gt_u32 s39, 7
	s_cbranch_scc1 .LBB0_487
; %bb.484:                              ;   in Loop: Header=BB0_452 Depth=2
	s_cmp_eq_u32 s39, 0
	s_cbranch_scc1 .LBB0_488
; %bb.485:                              ;   in Loop: Header=BB0_452 Depth=2
	s_mov_b64 s[34:35], 0
	v_pk_mov_b32 v[30:31], 0, 0
	s_mov_b64 s[36:37], 0
.LBB0_486:                              ;   Parent Loop BB0_141 Depth=1
                                        ;     Parent Loop BB0_452 Depth=2
                                        ; =>    This Inner Loop Header: Depth=3
	s_add_u32 s40, s0, s36
	s_addc_u32 s41, s1, s37
	global_load_ubyte v1, v3, s[40:41]
	s_add_u32 s36, s36, 1
	s_addc_u32 s37, s37, 0
	s_waitcnt vmcnt(0)
	v_and_b32_e32 v2, 0xffff, v1
	v_lshlrev_b64 v[6:7], s34, v[2:3]
	s_add_u32 s34, s34, 8
	s_addc_u32 s35, s35, 0
	v_or_b32_e32 v30, v6, v30
	s_cmp_lg_u32 s39, s36
	v_or_b32_e32 v31, v7, v31
	s_cbranch_scc1 .LBB0_486
	s_branch .LBB0_489
.LBB0_487:                              ;   in Loop: Header=BB0_452 Depth=2
                                        ; implicit-def: $sgpr38
	s_branch .LBB0_490
.LBB0_488:                              ;   in Loop: Header=BB0_452 Depth=2
	v_pk_mov_b32 v[30:31], 0, 0
.LBB0_489:                              ;   in Loop: Header=BB0_452 Depth=2
	s_mov_b32 s38, 0
	s_cbranch_execnz .LBB0_491
.LBB0_490:                              ;   in Loop: Header=BB0_452 Depth=2
	global_load_dwordx2 v[30:31], v3, s[0:1]
	s_add_i32 s38, s39, -8
	s_add_u32 s0, s0, 8
	s_addc_u32 s1, s1, 0
.LBB0_491:                              ;   in Loop: Header=BB0_452 Depth=2
	s_cmp_gt_u32 s38, 7
	s_cbranch_scc1 .LBB0_495
; %bb.492:                              ;   in Loop: Header=BB0_452 Depth=2
	s_cmp_eq_u32 s38, 0
	s_cbranch_scc1 .LBB0_496
; %bb.493:                              ;   in Loop: Header=BB0_452 Depth=2
	s_mov_b64 s[34:35], 0
	v_pk_mov_b32 v[32:33], 0, 0
	s_mov_b64 s[36:37], 0
.LBB0_494:                              ;   Parent Loop BB0_141 Depth=1
                                        ;     Parent Loop BB0_452 Depth=2
                                        ; =>    This Inner Loop Header: Depth=3
	s_add_u32 s40, s0, s36
	s_addc_u32 s41, s1, s37
	global_load_ubyte v1, v3, s[40:41]
	s_add_u32 s36, s36, 1
	s_addc_u32 s37, s37, 0
	s_waitcnt vmcnt(0)
	v_and_b32_e32 v2, 0xffff, v1
	v_lshlrev_b64 v[6:7], s34, v[2:3]
	s_add_u32 s34, s34, 8
	s_addc_u32 s35, s35, 0
	v_or_b32_e32 v32, v6, v32
	s_cmp_lg_u32 s38, s36
	v_or_b32_e32 v33, v7, v33
	s_cbranch_scc1 .LBB0_494
	s_branch .LBB0_497
.LBB0_495:                              ;   in Loop: Header=BB0_452 Depth=2
                                        ; implicit-def: $vgpr32_vgpr33
                                        ; implicit-def: $sgpr39
	s_branch .LBB0_498
.LBB0_496:                              ;   in Loop: Header=BB0_452 Depth=2
	v_pk_mov_b32 v[32:33], 0, 0
.LBB0_497:                              ;   in Loop: Header=BB0_452 Depth=2
	s_mov_b32 s39, 0
	s_cbranch_execnz .LBB0_499
.LBB0_498:                              ;   in Loop: Header=BB0_452 Depth=2
	global_load_dwordx2 v[32:33], v3, s[0:1]
	s_add_i32 s39, s38, -8
	s_add_u32 s0, s0, 8
	s_addc_u32 s1, s1, 0
.LBB0_499:                              ;   in Loop: Header=BB0_452 Depth=2
	s_cmp_gt_u32 s39, 7
	s_cbranch_scc1 .LBB0_503
; %bb.500:                              ;   in Loop: Header=BB0_452 Depth=2
	s_cmp_eq_u32 s39, 0
	s_cbranch_scc1 .LBB0_504
; %bb.501:                              ;   in Loop: Header=BB0_452 Depth=2
	s_mov_b64 s[34:35], 0
	v_pk_mov_b32 v[34:35], 0, 0
	s_mov_b64 s[36:37], s[0:1]
.LBB0_502:                              ;   Parent Loop BB0_141 Depth=1
                                        ;     Parent Loop BB0_452 Depth=2
                                        ; =>    This Inner Loop Header: Depth=3
	global_load_ubyte v1, v3, s[36:37]
	s_add_i32 s39, s39, -1
	s_waitcnt vmcnt(0)
	v_and_b32_e32 v2, 0xffff, v1
	v_lshlrev_b64 v[6:7], s34, v[2:3]
	s_add_u32 s34, s34, 8
	s_addc_u32 s35, s35, 0
	s_add_u32 s36, s36, 1
	s_addc_u32 s37, s37, 0
	v_or_b32_e32 v34, v6, v34
	s_cmp_lg_u32 s39, 0
	v_or_b32_e32 v35, v7, v35
	s_cbranch_scc1 .LBB0_502
	s_branch .LBB0_505
.LBB0_503:                              ;   in Loop: Header=BB0_452 Depth=2
	s_branch .LBB0_506
.LBB0_504:                              ;   in Loop: Header=BB0_452 Depth=2
	v_pk_mov_b32 v[34:35], 0, 0
.LBB0_505:                              ;   in Loop: Header=BB0_452 Depth=2
	s_cbranch_execnz .LBB0_507
.LBB0_506:                              ;   in Loop: Header=BB0_452 Depth=2
	global_load_dwordx2 v[34:35], v3, s[0:1]
.LBB0_507:                              ;   in Loop: Header=BB0_452 Depth=2
	v_readfirstlane_b32 s0, v42
	v_cmp_eq_u32_e64 s[0:1], s0, v42
	v_pk_mov_b32 v[6:7], 0, 0
	s_and_saveexec_b64 s[34:35], s[0:1]
	s_cbranch_execz .LBB0_513
; %bb.508:                              ;   in Loop: Header=BB0_452 Depth=2
	global_load_dwordx2 v[38:39], v3, s[2:3] offset:24 glc
	s_waitcnt vmcnt(0)
	buffer_invl2
	buffer_wbinvl1_vol
	global_load_dwordx2 v[6:7], v3, s[2:3] offset:40
	global_load_dwordx2 v[36:37], v3, s[2:3]
	s_waitcnt vmcnt(1)
	v_and_b32_e32 v1, v6, v38
	v_and_b32_e32 v2, v7, v39
	v_mul_lo_u32 v2, v2, 24
	v_mul_hi_u32 v5, v1, 24
	v_mul_lo_u32 v1, v1, 24
	v_add_u32_e32 v2, v5, v2
	s_waitcnt vmcnt(0)
	v_add_co_u32_e32 v6, vcc, v36, v1
	v_addc_co_u32_e32 v7, vcc, v37, v2, vcc
	global_load_dwordx2 v[36:37], v[6:7], off glc
	s_waitcnt vmcnt(0)
	global_atomic_cmpswap_x2 v[6:7], v3, v[36:39], s[2:3] offset:24 glc
	s_waitcnt vmcnt(0)
	buffer_invl2
	buffer_wbinvl1_vol
	v_cmp_ne_u64_e32 vcc, v[6:7], v[38:39]
	s_and_saveexec_b64 s[36:37], vcc
	s_cbranch_execz .LBB0_512
; %bb.509:                              ;   in Loop: Header=BB0_452 Depth=2
	s_mov_b64 s[38:39], 0
.LBB0_510:                              ;   Parent Loop BB0_141 Depth=1
                                        ;     Parent Loop BB0_452 Depth=2
                                        ; =>    This Inner Loop Header: Depth=3
	s_sleep 1
	global_load_dwordx2 v[36:37], v3, s[2:3] offset:40
	global_load_dwordx2 v[40:41], v3, s[2:3]
	v_pk_mov_b32 v[38:39], v[6:7], v[6:7] op_sel:[0,1]
	s_waitcnt vmcnt(1)
	v_and_b32_e32 v2, v36, v38
	s_waitcnt vmcnt(0)
	v_mad_u64_u32 v[6:7], s[40:41], v2, 24, v[40:41]
	v_and_b32_e32 v1, v37, v39
	v_mov_b32_e32 v2, v7
	v_mad_u64_u32 v[36:37], s[40:41], v1, 24, v[2:3]
	v_mov_b32_e32 v7, v36
	global_load_dwordx2 v[36:37], v[6:7], off glc
	s_waitcnt vmcnt(0)
	global_atomic_cmpswap_x2 v[6:7], v3, v[36:39], s[2:3] offset:24 glc
	s_waitcnt vmcnt(0)
	buffer_invl2
	buffer_wbinvl1_vol
	v_cmp_eq_u64_e32 vcc, v[6:7], v[38:39]
	s_or_b64 s[38:39], vcc, s[38:39]
	s_andn2_b64 exec, exec, s[38:39]
	s_cbranch_execnz .LBB0_510
; %bb.511:                              ;   in Loop: Header=BB0_452 Depth=2
	s_or_b64 exec, exec, s[38:39]
.LBB0_512:                              ;   in Loop: Header=BB0_452 Depth=2
	s_or_b64 exec, exec, s[36:37]
.LBB0_513:                              ;   in Loop: Header=BB0_452 Depth=2
	s_or_b64 exec, exec, s[34:35]
	global_load_dwordx2 v[40:41], v3, s[2:3] offset:40
	global_load_dwordx4 v[36:39], v3, s[2:3]
	v_readfirstlane_b32 s34, v6
	v_readfirstlane_b32 s35, v7
	s_mov_b64 s[36:37], exec
	s_waitcnt vmcnt(1)
	v_readfirstlane_b32 s38, v40
	v_readfirstlane_b32 s39, v41
	s_and_b64 s[38:39], s[34:35], s[38:39]
	s_mul_i32 s40, s39, 24
	s_mul_hi_u32 s41, s38, 24
	s_mul_i32 s42, s38, 24
	s_add_i32 s40, s41, s40
	v_mov_b32_e32 v1, s40
	s_waitcnt vmcnt(0)
	v_add_co_u32_e32 v40, vcc, s42, v36
	v_addc_co_u32_e32 v41, vcc, v37, v1, vcc
	s_and_saveexec_b64 s[40:41], s[0:1]
	s_cbranch_execz .LBB0_515
; %bb.514:                              ;   in Loop: Header=BB0_452 Depth=2
	v_pk_mov_b32 v[6:7], s[36:37], s[36:37] op_sel:[0,1]
	global_store_dwordx4 v[40:41], v[6:9], off offset:8
.LBB0_515:                              ;   in Loop: Header=BB0_452 Depth=2
	s_or_b64 exec, exec, s[40:41]
	s_lshl_b64 s[36:37], s[38:39], 12
	v_mov_b32_e32 v1, s37
	v_add_co_u32_e32 v6, vcc, s36, v38
	v_addc_co_u32_e32 v1, vcc, v39, v1, vcc
	v_or_b32_e32 v2, 0, v21
	v_or_b32_e32 v5, v20, v0
	v_cmp_gt_u64_e64 vcc, s[28:29], 56
	s_lshl_b32 s36, s30, 2
	v_cndmask_b32_e32 v21, v2, v21, vcc
	v_cndmask_b32_e32 v2, v5, v20, vcc
	s_add_i32 s36, s36, 28
	s_and_b32 s36, s36, 0x1e0
	v_and_b32_e32 v2, 0xffffff1f, v2
	v_or_b32_e32 v20, s36, v2
	v_readfirstlane_b32 s36, v6
	v_readfirstlane_b32 s37, v1
	s_nop 4
	global_store_dwordx4 v43, v[20:23], s[36:37]
	global_store_dwordx4 v43, v[24:27], s[36:37] offset:16
	global_store_dwordx4 v43, v[28:31], s[36:37] offset:32
	;; [unrolled: 1-line block ×3, first 2 shown]
	s_and_saveexec_b64 s[36:37], s[0:1]
	s_cbranch_execz .LBB0_523
; %bb.516:                              ;   in Loop: Header=BB0_452 Depth=2
	global_load_dwordx2 v[28:29], v3, s[2:3] offset:32 glc
	global_load_dwordx2 v[20:21], v3, s[2:3] offset:40
	v_mov_b32_e32 v26, s34
	v_mov_b32_e32 v27, s35
	s_waitcnt vmcnt(0)
	v_readfirstlane_b32 s38, v20
	v_readfirstlane_b32 s39, v21
	s_and_b64 s[38:39], s[38:39], s[34:35]
	s_mul_i32 s39, s39, 24
	s_mul_hi_u32 s40, s38, 24
	s_mul_i32 s38, s38, 24
	s_add_i32 s39, s40, s39
	v_mov_b32_e32 v2, s39
	v_add_co_u32_e32 v24, vcc, s38, v36
	v_addc_co_u32_e32 v25, vcc, v37, v2, vcc
	global_store_dwordx2 v[24:25], v[28:29], off
	buffer_wbl2
	s_waitcnt vmcnt(0)
	global_atomic_cmpswap_x2 v[22:23], v3, v[26:29], s[2:3] offset:32 glc
	s_waitcnt vmcnt(0)
	v_cmp_ne_u64_e32 vcc, v[22:23], v[28:29]
	s_and_saveexec_b64 s[38:39], vcc
	s_cbranch_execz .LBB0_519
; %bb.517:                              ;   in Loop: Header=BB0_452 Depth=2
	s_mov_b64 s[40:41], 0
.LBB0_518:                              ;   Parent Loop BB0_141 Depth=1
                                        ;     Parent Loop BB0_452 Depth=2
                                        ; =>    This Inner Loop Header: Depth=3
	s_sleep 1
	global_store_dwordx2 v[24:25], v[22:23], off
	v_mov_b32_e32 v20, s34
	v_mov_b32_e32 v21, s35
	buffer_wbl2
	s_waitcnt vmcnt(0)
	global_atomic_cmpswap_x2 v[20:21], v3, v[20:23], s[2:3] offset:32 glc
	s_waitcnt vmcnt(0)
	v_cmp_eq_u64_e32 vcc, v[20:21], v[22:23]
	s_or_b64 s[40:41], vcc, s[40:41]
	v_pk_mov_b32 v[22:23], v[20:21], v[20:21] op_sel:[0,1]
	s_andn2_b64 exec, exec, s[40:41]
	s_cbranch_execnz .LBB0_518
.LBB0_519:                              ;   in Loop: Header=BB0_452 Depth=2
	s_or_b64 exec, exec, s[38:39]
	global_load_dwordx2 v[20:21], v3, s[2:3] offset:16
	s_mov_b64 s[40:41], exec
	v_mbcnt_lo_u32_b32 v2, s40, 0
	v_mbcnt_hi_u32_b32 v2, s41, v2
	v_cmp_eq_u32_e32 vcc, 0, v2
	s_and_saveexec_b64 s[38:39], vcc
	s_cbranch_execz .LBB0_521
; %bb.520:                              ;   in Loop: Header=BB0_452 Depth=2
	s_bcnt1_i32_b64 s40, s[40:41]
	v_mov_b32_e32 v2, s40
	buffer_wbl2
	s_waitcnt vmcnt(0)
	global_atomic_add_x2 v[20:21], v[2:3], off offset:8
.LBB0_521:                              ;   in Loop: Header=BB0_452 Depth=2
	s_or_b64 exec, exec, s[38:39]
	s_waitcnt vmcnt(0)
	global_load_dwordx2 v[22:23], v[20:21], off offset:16
	s_waitcnt vmcnt(0)
	v_cmp_eq_u64_e32 vcc, 0, v[22:23]
	s_cbranch_vccnz .LBB0_523
; %bb.522:                              ;   in Loop: Header=BB0_452 Depth=2
	global_load_dword v2, v[20:21], off offset:24
	buffer_wbl2
	s_waitcnt vmcnt(0)
	global_store_dwordx2 v[22:23], v[2:3], off
	v_and_b32_e32 v2, 0xffffff, v2
	v_readfirstlane_b32 m0, v2
	s_sendmsg sendmsg(MSG_INTERRUPT)
.LBB0_523:                              ;   in Loop: Header=BB0_452 Depth=2
	s_or_b64 exec, exec, s[36:37]
	v_add_co_u32_e32 v6, vcc, v6, v43
	v_addc_co_u32_e32 v7, vcc, 0, v1, vcc
	s_branch .LBB0_527
.LBB0_524:                              ;   in Loop: Header=BB0_527 Depth=3
	s_or_b64 exec, exec, s[36:37]
	v_readfirstlane_b32 s36, v1
	s_cmp_eq_u32 s36, 0
	s_cbranch_scc1 .LBB0_526
; %bb.525:                              ;   in Loop: Header=BB0_527 Depth=3
	s_sleep 1
	s_cbranch_execnz .LBB0_527
	s_branch .LBB0_529
.LBB0_526:                              ;   in Loop: Header=BB0_452 Depth=2
	s_branch .LBB0_529
.LBB0_527:                              ;   Parent Loop BB0_141 Depth=1
                                        ;     Parent Loop BB0_452 Depth=2
                                        ; =>    This Inner Loop Header: Depth=3
	v_mov_b32_e32 v1, 1
	s_and_saveexec_b64 s[36:37], s[0:1]
	s_cbranch_execz .LBB0_524
; %bb.528:                              ;   in Loop: Header=BB0_527 Depth=3
	global_load_dword v1, v[40:41], off offset:20 glc
	s_waitcnt vmcnt(0)
	buffer_invl2
	buffer_wbinvl1_vol
	v_and_b32_e32 v1, 1, v1
	s_branch .LBB0_524
.LBB0_529:                              ;   in Loop: Header=BB0_452 Depth=2
	global_load_dwordx4 v[20:23], v[6:7], off
	s_and_saveexec_b64 s[36:37], s[0:1]
	s_cbranch_execz .LBB0_451
; %bb.530:                              ;   in Loop: Header=BB0_452 Depth=2
	global_load_dwordx2 v[6:7], v3, s[2:3] offset:40
	global_load_dwordx2 v[26:27], v3, s[2:3] offset:24 glc
	global_load_dwordx2 v[28:29], v3, s[2:3]
	v_mov_b32_e32 v1, s35
	s_waitcnt vmcnt(2)
	v_add_co_u32_e32 v2, vcc, 1, v6
	v_addc_co_u32_e32 v5, vcc, 0, v7, vcc
	v_add_co_u32_e32 v22, vcc, s34, v2
	v_addc_co_u32_e32 v23, vcc, v5, v1, vcc
	v_cmp_eq_u64_e32 vcc, 0, v[22:23]
	v_cndmask_b32_e32 v23, v23, v5, vcc
	v_cndmask_b32_e32 v22, v22, v2, vcc
	v_and_b32_e32 v1, v23, v7
	v_and_b32_e32 v2, v22, v6
	v_mul_lo_u32 v1, v1, 24
	v_mul_hi_u32 v5, v2, 24
	v_mul_lo_u32 v2, v2, 24
	v_add_u32_e32 v1, v5, v1
	s_waitcnt vmcnt(0)
	v_add_co_u32_e32 v6, vcc, v28, v2
	v_addc_co_u32_e32 v7, vcc, v29, v1, vcc
	v_mov_b32_e32 v24, v26
	global_store_dwordx2 v[6:7], v[26:27], off
	v_mov_b32_e32 v25, v27
	buffer_wbl2
	s_waitcnt vmcnt(0)
	global_atomic_cmpswap_x2 v[24:25], v3, v[22:25], s[2:3] offset:24 glc
	s_waitcnt vmcnt(0)
	v_cmp_ne_u64_e32 vcc, v[24:25], v[26:27]
	s_and_b64 exec, exec, vcc
	s_cbranch_execz .LBB0_451
; %bb.531:                              ;   in Loop: Header=BB0_452 Depth=2
	s_mov_b64 s[0:1], 0
.LBB0_532:                              ;   Parent Loop BB0_141 Depth=1
                                        ;     Parent Loop BB0_452 Depth=2
                                        ; =>    This Inner Loop Header: Depth=3
	s_sleep 1
	global_store_dwordx2 v[6:7], v[24:25], off
	buffer_wbl2
	s_waitcnt vmcnt(0)
	global_atomic_cmpswap_x2 v[26:27], v3, v[22:25], s[2:3] offset:24 glc
	s_waitcnt vmcnt(0)
	v_cmp_eq_u64_e32 vcc, v[26:27], v[24:25]
	s_or_b64 s[0:1], vcc, s[0:1]
	v_pk_mov_b32 v[24:25], v[26:27], v[26:27] op_sel:[0,1]
	s_andn2_b64 exec, exec, s[0:1]
	s_cbranch_execnz .LBB0_532
	s_branch .LBB0_451
.LBB0_533:                              ;   in Loop: Header=BB0_141 Depth=1
	s_branch .LBB0_562
.LBB0_534:                              ;   in Loop: Header=BB0_141 Depth=1
                                        ; implicit-def: $vgpr20_vgpr21
	s_cbranch_execz .LBB0_562
; %bb.535:                              ;   in Loop: Header=BB0_141 Depth=1
	v_readfirstlane_b32 s0, v42
	v_cmp_eq_u32_e64 s[0:1], s0, v42
	s_waitcnt vmcnt(0)
	v_pk_mov_b32 v[0:1], 0, 0
	s_and_saveexec_b64 s[26:27], s[0:1]
	s_cbranch_execz .LBB0_541
; %bb.536:                              ;   in Loop: Header=BB0_141 Depth=1
	global_load_dwordx2 v[22:23], v3, s[2:3] offset:24 glc
	s_waitcnt vmcnt(0)
	buffer_invl2
	buffer_wbinvl1_vol
	global_load_dwordx2 v[0:1], v3, s[2:3] offset:40
	global_load_dwordx2 v[6:7], v3, s[2:3]
	s_waitcnt vmcnt(1)
	v_and_b32_e32 v0, v0, v22
	v_and_b32_e32 v1, v1, v23
	v_mul_lo_u32 v1, v1, 24
	v_mul_hi_u32 v2, v0, 24
	v_mul_lo_u32 v0, v0, 24
	v_add_u32_e32 v1, v2, v1
	s_waitcnt vmcnt(0)
	v_add_co_u32_e32 v0, vcc, v6, v0
	v_addc_co_u32_e32 v1, vcc, v7, v1, vcc
	global_load_dwordx2 v[20:21], v[0:1], off glc
	s_waitcnt vmcnt(0)
	global_atomic_cmpswap_x2 v[0:1], v3, v[20:23], s[2:3] offset:24 glc
	s_waitcnt vmcnt(0)
	buffer_invl2
	buffer_wbinvl1_vol
	v_cmp_ne_u64_e32 vcc, v[0:1], v[22:23]
	s_and_saveexec_b64 s[28:29], vcc
	s_cbranch_execz .LBB0_540
; %bb.537:                              ;   in Loop: Header=BB0_141 Depth=1
	s_mov_b64 s[30:31], 0
.LBB0_538:                              ;   Parent Loop BB0_141 Depth=1
                                        ; =>  This Inner Loop Header: Depth=2
	s_sleep 1
	global_load_dwordx2 v[6:7], v3, s[2:3] offset:40
	global_load_dwordx2 v[20:21], v3, s[2:3]
	v_pk_mov_b32 v[22:23], v[0:1], v[0:1] op_sel:[0,1]
	s_waitcnt vmcnt(1)
	v_and_b32_e32 v0, v6, v22
	s_waitcnt vmcnt(0)
	v_mad_u64_u32 v[0:1], s[34:35], v0, 24, v[20:21]
	v_and_b32_e32 v5, v7, v23
	v_mov_b32_e32 v2, v1
	v_mad_u64_u32 v[6:7], s[34:35], v5, 24, v[2:3]
	v_mov_b32_e32 v1, v6
	global_load_dwordx2 v[20:21], v[0:1], off glc
	s_waitcnt vmcnt(0)
	global_atomic_cmpswap_x2 v[0:1], v3, v[20:23], s[2:3] offset:24 glc
	s_waitcnt vmcnt(0)
	buffer_invl2
	buffer_wbinvl1_vol
	v_cmp_eq_u64_e32 vcc, v[0:1], v[22:23]
	s_or_b64 s[30:31], vcc, s[30:31]
	s_andn2_b64 exec, exec, s[30:31]
	s_cbranch_execnz .LBB0_538
; %bb.539:                              ;   in Loop: Header=BB0_141 Depth=1
	s_or_b64 exec, exec, s[30:31]
.LBB0_540:                              ;   in Loop: Header=BB0_141 Depth=1
	s_or_b64 exec, exec, s[28:29]
.LBB0_541:                              ;   in Loop: Header=BB0_141 Depth=1
	s_or_b64 exec, exec, s[26:27]
	global_load_dwordx2 v[6:7], v3, s[2:3] offset:40
	global_load_dwordx4 v[22:25], v3, s[2:3]
	v_readfirstlane_b32 s26, v0
	v_readfirstlane_b32 s27, v1
	s_mov_b64 s[28:29], exec
	s_waitcnt vmcnt(1)
	v_readfirstlane_b32 s30, v6
	v_readfirstlane_b32 s31, v7
	s_and_b64 s[30:31], s[26:27], s[30:31]
	s_mul_i32 s34, s31, 24
	s_mul_hi_u32 s35, s30, 24
	s_mul_i32 s36, s30, 24
	s_add_i32 s34, s35, s34
	v_mov_b32_e32 v1, s34
	s_waitcnt vmcnt(0)
	v_add_co_u32_e32 v0, vcc, s36, v22
	v_addc_co_u32_e32 v1, vcc, v23, v1, vcc
	s_and_saveexec_b64 s[34:35], s[0:1]
	s_cbranch_execz .LBB0_543
; %bb.542:                              ;   in Loop: Header=BB0_141 Depth=1
	v_pk_mov_b32 v[6:7], s[28:29], s[28:29] op_sel:[0,1]
	global_store_dwordx4 v[0:1], v[6:9], off offset:8
.LBB0_543:                              ;   in Loop: Header=BB0_141 Depth=1
	s_or_b64 exec, exec, s[34:35]
	s_lshl_b64 s[28:29], s[30:31], 12
	v_mov_b32_e32 v2, s29
	v_add_co_u32_e32 v6, vcc, s28, v24
	v_addc_co_u32_e32 v5, vcc, v25, v2, vcc
	v_and_or_b32 v18, v18, s8, 32
	v_mov_b32_e32 v20, v3
	v_mov_b32_e32 v21, v3
	v_readfirstlane_b32 s28, v6
	v_readfirstlane_b32 s29, v5
	s_nop 4
	global_store_dwordx4 v43, v[18:21], s[28:29]
	s_nop 0
	v_pk_mov_b32 v[20:21], s[6:7], s[6:7] op_sel:[0,1]
	v_pk_mov_b32 v[18:19], s[4:5], s[4:5] op_sel:[0,1]
	global_store_dwordx4 v43, v[18:21], s[28:29] offset:16
	global_store_dwordx4 v43, v[18:21], s[28:29] offset:32
	;; [unrolled: 1-line block ×3, first 2 shown]
	s_and_saveexec_b64 s[28:29], s[0:1]
	s_cbranch_execz .LBB0_551
; %bb.544:                              ;   in Loop: Header=BB0_141 Depth=1
	global_load_dwordx2 v[26:27], v3, s[2:3] offset:32 glc
	global_load_dwordx2 v[18:19], v3, s[2:3] offset:40
	v_mov_b32_e32 v24, s26
	v_mov_b32_e32 v25, s27
	s_waitcnt vmcnt(0)
	v_readfirstlane_b32 s30, v18
	v_readfirstlane_b32 s31, v19
	s_and_b64 s[30:31], s[30:31], s[26:27]
	s_mul_i32 s31, s31, 24
	s_mul_hi_u32 s34, s30, 24
	s_mul_i32 s30, s30, 24
	s_add_i32 s31, s34, s31
	v_mov_b32_e32 v2, s31
	v_add_co_u32_e32 v22, vcc, s30, v22
	v_addc_co_u32_e32 v23, vcc, v23, v2, vcc
	global_store_dwordx2 v[22:23], v[26:27], off
	buffer_wbl2
	s_waitcnt vmcnt(0)
	global_atomic_cmpswap_x2 v[20:21], v3, v[24:27], s[2:3] offset:32 glc
	s_waitcnt vmcnt(0)
	v_cmp_ne_u64_e32 vcc, v[20:21], v[26:27]
	s_and_saveexec_b64 s[30:31], vcc
	s_cbranch_execz .LBB0_547
; %bb.545:                              ;   in Loop: Header=BB0_141 Depth=1
	s_mov_b64 s[34:35], 0
.LBB0_546:                              ;   Parent Loop BB0_141 Depth=1
                                        ; =>  This Inner Loop Header: Depth=2
	s_sleep 1
	global_store_dwordx2 v[22:23], v[20:21], off
	v_mov_b32_e32 v18, s26
	v_mov_b32_e32 v19, s27
	buffer_wbl2
	s_waitcnt vmcnt(0)
	global_atomic_cmpswap_x2 v[18:19], v3, v[18:21], s[2:3] offset:32 glc
	s_waitcnt vmcnt(0)
	v_cmp_eq_u64_e32 vcc, v[18:19], v[20:21]
	s_or_b64 s[34:35], vcc, s[34:35]
	v_pk_mov_b32 v[20:21], v[18:19], v[18:19] op_sel:[0,1]
	s_andn2_b64 exec, exec, s[34:35]
	s_cbranch_execnz .LBB0_546
.LBB0_547:                              ;   in Loop: Header=BB0_141 Depth=1
	s_or_b64 exec, exec, s[30:31]
	global_load_dwordx2 v[18:19], v3, s[2:3] offset:16
	s_mov_b64 s[34:35], exec
	v_mbcnt_lo_u32_b32 v2, s34, 0
	v_mbcnt_hi_u32_b32 v2, s35, v2
	v_cmp_eq_u32_e32 vcc, 0, v2
	s_and_saveexec_b64 s[30:31], vcc
	s_cbranch_execz .LBB0_549
; %bb.548:                              ;   in Loop: Header=BB0_141 Depth=1
	s_bcnt1_i32_b64 s34, s[34:35]
	v_mov_b32_e32 v2, s34
	buffer_wbl2
	s_waitcnt vmcnt(0)
	global_atomic_add_x2 v[18:19], v[2:3], off offset:8
.LBB0_549:                              ;   in Loop: Header=BB0_141 Depth=1
	s_or_b64 exec, exec, s[30:31]
	s_waitcnt vmcnt(0)
	global_load_dwordx2 v[20:21], v[18:19], off offset:16
	s_waitcnt vmcnt(0)
	v_cmp_eq_u64_e32 vcc, 0, v[20:21]
	s_cbranch_vccnz .LBB0_551
; %bb.550:                              ;   in Loop: Header=BB0_141 Depth=1
	global_load_dword v2, v[18:19], off offset:24
	buffer_wbl2
	s_waitcnt vmcnt(0)
	global_store_dwordx2 v[20:21], v[2:3], off
	v_and_b32_e32 v2, 0xffffff, v2
	v_readfirstlane_b32 m0, v2
	s_sendmsg sendmsg(MSG_INTERRUPT)
.LBB0_551:                              ;   in Loop: Header=BB0_141 Depth=1
	s_or_b64 exec, exec, s[28:29]
	v_add_co_u32_e32 v6, vcc, v6, v43
	v_addc_co_u32_e32 v7, vcc, 0, v5, vcc
	s_branch .LBB0_555
.LBB0_552:                              ;   in Loop: Header=BB0_555 Depth=2
	s_or_b64 exec, exec, s[28:29]
	v_readfirstlane_b32 s28, v2
	s_cmp_eq_u32 s28, 0
	s_cbranch_scc1 .LBB0_554
; %bb.553:                              ;   in Loop: Header=BB0_555 Depth=2
	s_sleep 1
	s_cbranch_execnz .LBB0_555
	s_branch .LBB0_557
.LBB0_554:                              ;   in Loop: Header=BB0_141 Depth=1
	s_branch .LBB0_557
.LBB0_555:                              ;   Parent Loop BB0_141 Depth=1
                                        ; =>  This Inner Loop Header: Depth=2
	v_mov_b32_e32 v2, 1
	s_and_saveexec_b64 s[28:29], s[0:1]
	s_cbranch_execz .LBB0_552
; %bb.556:                              ;   in Loop: Header=BB0_555 Depth=2
	global_load_dword v2, v[0:1], off offset:20 glc
	s_waitcnt vmcnt(0)
	buffer_invl2
	buffer_wbinvl1_vol
	v_and_b32_e32 v2, 1, v2
	s_branch .LBB0_552
.LBB0_557:                              ;   in Loop: Header=BB0_141 Depth=1
	global_load_dwordx2 v[20:21], v[6:7], off
	s_and_saveexec_b64 s[28:29], s[0:1]
	s_cbranch_execz .LBB0_561
; %bb.558:                              ;   in Loop: Header=BB0_141 Depth=1
	global_load_dwordx2 v[0:1], v3, s[2:3] offset:40
	global_load_dwordx2 v[6:7], v3, s[2:3] offset:24 glc
	global_load_dwordx2 v[18:19], v3, s[2:3]
	v_mov_b32_e32 v2, s27
	s_waitcnt vmcnt(2)
	v_add_co_u32_e32 v5, vcc, 1, v0
	v_addc_co_u32_e32 v25, vcc, 0, v1, vcc
	v_add_co_u32_e32 v22, vcc, s26, v5
	v_addc_co_u32_e32 v23, vcc, v25, v2, vcc
	v_cmp_eq_u64_e32 vcc, 0, v[22:23]
	v_cndmask_b32_e32 v23, v23, v25, vcc
	v_cndmask_b32_e32 v22, v22, v5, vcc
	v_and_b32_e32 v1, v23, v1
	v_and_b32_e32 v0, v22, v0
	v_mul_lo_u32 v1, v1, 24
	v_mul_hi_u32 v2, v0, 24
	v_mul_lo_u32 v0, v0, 24
	v_add_u32_e32 v1, v2, v1
	s_waitcnt vmcnt(0)
	v_add_co_u32_e32 v0, vcc, v18, v0
	v_addc_co_u32_e32 v1, vcc, v19, v1, vcc
	v_mov_b32_e32 v24, v6
	global_store_dwordx2 v[0:1], v[6:7], off
	v_mov_b32_e32 v25, v7
	buffer_wbl2
	s_waitcnt vmcnt(0)
	global_atomic_cmpswap_x2 v[24:25], v3, v[22:25], s[2:3] offset:24 glc
	s_waitcnt vmcnt(0)
	v_cmp_ne_u64_e32 vcc, v[24:25], v[6:7]
	s_and_b64 exec, exec, vcc
	s_cbranch_execz .LBB0_561
; %bb.559:                              ;   in Loop: Header=BB0_141 Depth=1
	s_mov_b64 s[0:1], 0
.LBB0_560:                              ;   Parent Loop BB0_141 Depth=1
                                        ; =>  This Inner Loop Header: Depth=2
	s_sleep 1
	global_store_dwordx2 v[0:1], v[24:25], off
	buffer_wbl2
	s_waitcnt vmcnt(0)
	global_atomic_cmpswap_x2 v[6:7], v3, v[22:25], s[2:3] offset:24 glc
	s_waitcnt vmcnt(0)
	v_cmp_eq_u64_e32 vcc, v[6:7], v[24:25]
	s_or_b64 s[0:1], vcc, s[0:1]
	v_pk_mov_b32 v[24:25], v[6:7], v[6:7] op_sel:[0,1]
	s_andn2_b64 exec, exec, s[0:1]
	s_cbranch_execnz .LBB0_560
.LBB0_561:                              ;   in Loop: Header=BB0_141 Depth=1
	s_or_b64 exec, exec, s[28:29]
.LBB0_562:                              ;   in Loop: Header=BB0_141 Depth=1
	v_readfirstlane_b32 s0, v42
	v_cmp_eq_u32_e64 s[0:1], s0, v42
	s_waitcnt vmcnt(0)
	v_pk_mov_b32 v[0:1], 0, 0
	s_and_saveexec_b64 s[26:27], s[0:1]
	s_cbranch_execz .LBB0_568
; %bb.563:                              ;   in Loop: Header=BB0_141 Depth=1
	global_load_dwordx2 v[24:25], v3, s[2:3] offset:24 glc
	s_waitcnt vmcnt(0)
	buffer_invl2
	buffer_wbinvl1_vol
	global_load_dwordx2 v[0:1], v3, s[2:3] offset:40
	global_load_dwordx2 v[6:7], v3, s[2:3]
	s_waitcnt vmcnt(1)
	v_and_b32_e32 v0, v0, v24
	v_and_b32_e32 v1, v1, v25
	v_mul_lo_u32 v1, v1, 24
	v_mul_hi_u32 v2, v0, 24
	v_mul_lo_u32 v0, v0, 24
	v_add_u32_e32 v1, v2, v1
	s_waitcnt vmcnt(0)
	v_add_co_u32_e32 v0, vcc, v6, v0
	v_addc_co_u32_e32 v1, vcc, v7, v1, vcc
	global_load_dwordx2 v[22:23], v[0:1], off glc
	s_waitcnt vmcnt(0)
	global_atomic_cmpswap_x2 v[0:1], v3, v[22:25], s[2:3] offset:24 glc
	s_waitcnt vmcnt(0)
	buffer_invl2
	buffer_wbinvl1_vol
	v_cmp_ne_u64_e32 vcc, v[0:1], v[24:25]
	s_and_saveexec_b64 s[28:29], vcc
	s_cbranch_execz .LBB0_567
; %bb.564:                              ;   in Loop: Header=BB0_141 Depth=1
	s_mov_b64 s[30:31], 0
.LBB0_565:                              ;   Parent Loop BB0_141 Depth=1
                                        ; =>  This Inner Loop Header: Depth=2
	s_sleep 1
	global_load_dwordx2 v[6:7], v3, s[2:3] offset:40
	global_load_dwordx2 v[18:19], v3, s[2:3]
	v_pk_mov_b32 v[24:25], v[0:1], v[0:1] op_sel:[0,1]
	s_waitcnt vmcnt(1)
	v_and_b32_e32 v0, v6, v24
	s_waitcnt vmcnt(0)
	v_mad_u64_u32 v[0:1], s[34:35], v0, 24, v[18:19]
	v_and_b32_e32 v5, v7, v25
	v_mov_b32_e32 v2, v1
	v_mad_u64_u32 v[6:7], s[34:35], v5, 24, v[2:3]
	v_mov_b32_e32 v1, v6
	global_load_dwordx2 v[22:23], v[0:1], off glc
	s_waitcnt vmcnt(0)
	global_atomic_cmpswap_x2 v[0:1], v3, v[22:25], s[2:3] offset:24 glc
	s_waitcnt vmcnt(0)
	buffer_invl2
	buffer_wbinvl1_vol
	v_cmp_eq_u64_e32 vcc, v[0:1], v[24:25]
	s_or_b64 s[30:31], vcc, s[30:31]
	s_andn2_b64 exec, exec, s[30:31]
	s_cbranch_execnz .LBB0_565
; %bb.566:                              ;   in Loop: Header=BB0_141 Depth=1
	s_or_b64 exec, exec, s[30:31]
.LBB0_567:                              ;   in Loop: Header=BB0_141 Depth=1
	s_or_b64 exec, exec, s[28:29]
.LBB0_568:                              ;   in Loop: Header=BB0_141 Depth=1
	s_or_b64 exec, exec, s[26:27]
	global_load_dwordx2 v[6:7], v3, s[2:3] offset:40
	global_load_dwordx4 v[24:27], v3, s[2:3]
	v_readfirstlane_b32 s26, v0
	v_readfirstlane_b32 s27, v1
	s_mov_b64 s[28:29], exec
	s_waitcnt vmcnt(1)
	v_readfirstlane_b32 s30, v6
	v_readfirstlane_b32 s31, v7
	s_and_b64 s[30:31], s[26:27], s[30:31]
	s_mul_i32 s34, s31, 24
	s_mul_hi_u32 s35, s30, 24
	s_mul_i32 s36, s30, 24
	s_add_i32 s34, s35, s34
	v_mov_b32_e32 v1, s34
	s_waitcnt vmcnt(0)
	v_add_co_u32_e32 v0, vcc, s36, v24
	v_addc_co_u32_e32 v1, vcc, v25, v1, vcc
	s_and_saveexec_b64 s[34:35], s[0:1]
	s_cbranch_execz .LBB0_570
; %bb.569:                              ;   in Loop: Header=BB0_141 Depth=1
	v_pk_mov_b32 v[6:7], s[28:29], s[28:29] op_sel:[0,1]
	global_store_dwordx4 v[0:1], v[6:9], off offset:8
.LBB0_570:                              ;   in Loop: Header=BB0_141 Depth=1
	s_or_b64 exec, exec, s[34:35]
	s_lshl_b64 s[28:29], s[30:31], 12
	v_mov_b32_e32 v5, s29
	v_add_co_u32_e32 v2, vcc, s28, v26
	v_addc_co_u32_e32 v5, vcc, v27, v5, vcc
	s_ashr_i32 s28, s33, 1
	v_and_or_b32 v20, v20, s11, 34
	v_mov_b32_e32 v22, s28
	v_mov_b32_e32 v23, v3
	v_readfirstlane_b32 s28, v2
	v_readfirstlane_b32 s29, v5
	s_nop 4
	global_store_dwordx4 v43, v[20:23], s[28:29]
	s_nop 0
	v_pk_mov_b32 v[20:21], s[6:7], s[6:7] op_sel:[0,1]
	v_pk_mov_b32 v[18:19], s[4:5], s[4:5] op_sel:[0,1]
	global_store_dwordx4 v43, v[18:21], s[28:29] offset:16
	global_store_dwordx4 v43, v[18:21], s[28:29] offset:32
	;; [unrolled: 1-line block ×3, first 2 shown]
	s_and_saveexec_b64 s[28:29], s[0:1]
	s_cbranch_execz .LBB0_578
; %bb.571:                              ;   in Loop: Header=BB0_141 Depth=1
	global_load_dwordx2 v[22:23], v3, s[2:3] offset:32 glc
	global_load_dwordx2 v[6:7], v3, s[2:3] offset:40
	v_mov_b32_e32 v20, s26
	v_mov_b32_e32 v21, s27
	s_waitcnt vmcnt(0)
	v_readfirstlane_b32 s30, v6
	v_readfirstlane_b32 s31, v7
	s_and_b64 s[30:31], s[30:31], s[26:27]
	s_mul_i32 s31, s31, 24
	s_mul_hi_u32 s33, s30, 24
	s_mul_i32 s30, s30, 24
	s_add_i32 s31, s33, s31
	v_mov_b32_e32 v2, s31
	v_add_co_u32_e32 v6, vcc, s30, v24
	v_addc_co_u32_e32 v7, vcc, v25, v2, vcc
	global_store_dwordx2 v[6:7], v[22:23], off
	buffer_wbl2
	s_waitcnt vmcnt(0)
	global_atomic_cmpswap_x2 v[20:21], v3, v[20:23], s[2:3] offset:32 glc
	s_waitcnt vmcnt(0)
	v_cmp_ne_u64_e32 vcc, v[20:21], v[22:23]
	s_and_saveexec_b64 s[30:31], vcc
	s_cbranch_execz .LBB0_574
; %bb.572:                              ;   in Loop: Header=BB0_141 Depth=1
	s_mov_b64 s[34:35], 0
.LBB0_573:                              ;   Parent Loop BB0_141 Depth=1
                                        ; =>  This Inner Loop Header: Depth=2
	s_sleep 1
	global_store_dwordx2 v[6:7], v[20:21], off
	v_mov_b32_e32 v18, s26
	v_mov_b32_e32 v19, s27
	buffer_wbl2
	s_waitcnt vmcnt(0)
	global_atomic_cmpswap_x2 v[18:19], v3, v[18:21], s[2:3] offset:32 glc
	s_waitcnt vmcnt(0)
	v_cmp_eq_u64_e32 vcc, v[18:19], v[20:21]
	s_or_b64 s[34:35], vcc, s[34:35]
	v_pk_mov_b32 v[20:21], v[18:19], v[18:19] op_sel:[0,1]
	s_andn2_b64 exec, exec, s[34:35]
	s_cbranch_execnz .LBB0_573
.LBB0_574:                              ;   in Loop: Header=BB0_141 Depth=1
	s_or_b64 exec, exec, s[30:31]
	global_load_dwordx2 v[6:7], v3, s[2:3] offset:16
	s_mov_b64 s[34:35], exec
	v_mbcnt_lo_u32_b32 v2, s34, 0
	v_mbcnt_hi_u32_b32 v2, s35, v2
	v_cmp_eq_u32_e32 vcc, 0, v2
	s_and_saveexec_b64 s[30:31], vcc
	s_cbranch_execz .LBB0_576
; %bb.575:                              ;   in Loop: Header=BB0_141 Depth=1
	s_bcnt1_i32_b64 s33, s[34:35]
	v_mov_b32_e32 v2, s33
	buffer_wbl2
	s_waitcnt vmcnt(0)
	global_atomic_add_x2 v[6:7], v[2:3], off offset:8
.LBB0_576:                              ;   in Loop: Header=BB0_141 Depth=1
	s_or_b64 exec, exec, s[30:31]
	s_waitcnt vmcnt(0)
	global_load_dwordx2 v[18:19], v[6:7], off offset:16
	s_waitcnt vmcnt(0)
	v_cmp_eq_u64_e32 vcc, 0, v[18:19]
	s_cbranch_vccnz .LBB0_578
; %bb.577:                              ;   in Loop: Header=BB0_141 Depth=1
	global_load_dword v2, v[6:7], off offset:24
	buffer_wbl2
	s_waitcnt vmcnt(0)
	global_store_dwordx2 v[18:19], v[2:3], off
	v_and_b32_e32 v2, 0xffffff, v2
	v_readfirstlane_b32 m0, v2
	s_sendmsg sendmsg(MSG_INTERRUPT)
.LBB0_578:                              ;   in Loop: Header=BB0_141 Depth=1
	s_or_b64 exec, exec, s[28:29]
	s_branch .LBB0_582
.LBB0_579:                              ;   in Loop: Header=BB0_582 Depth=2
	s_or_b64 exec, exec, s[28:29]
	v_readfirstlane_b32 s28, v2
	s_cmp_eq_u32 s28, 0
	s_cbranch_scc1 .LBB0_581
; %bb.580:                              ;   in Loop: Header=BB0_582 Depth=2
	s_sleep 1
	s_cbranch_execnz .LBB0_582
	s_branch .LBB0_584
.LBB0_581:                              ;   in Loop: Header=BB0_141 Depth=1
	s_branch .LBB0_584
.LBB0_582:                              ;   Parent Loop BB0_141 Depth=1
                                        ; =>  This Inner Loop Header: Depth=2
	v_mov_b32_e32 v2, 1
	s_and_saveexec_b64 s[28:29], s[0:1]
	s_cbranch_execz .LBB0_579
; %bb.583:                              ;   in Loop: Header=BB0_582 Depth=2
	global_load_dword v2, v[0:1], off offset:20 glc
	s_waitcnt vmcnt(0)
	buffer_invl2
	buffer_wbinvl1_vol
	v_and_b32_e32 v2, 1, v2
	s_branch .LBB0_579
.LBB0_584:                              ;   in Loop: Header=BB0_141 Depth=1
	s_and_saveexec_b64 s[28:29], s[0:1]
	s_cbranch_execz .LBB0_588
; %bb.585:                              ;   in Loop: Header=BB0_141 Depth=1
	global_load_dwordx2 v[0:1], v3, s[2:3] offset:40
	global_load_dwordx2 v[6:7], v3, s[2:3] offset:24 glc
	global_load_dwordx2 v[22:23], v3, s[2:3]
	v_mov_b32_e32 v2, s27
	s_waitcnt vmcnt(2)
	v_add_co_u32_e32 v5, vcc, 1, v0
	v_addc_co_u32_e32 v21, vcc, 0, v1, vcc
	v_add_co_u32_e32 v18, vcc, s26, v5
	v_addc_co_u32_e32 v19, vcc, v21, v2, vcc
	v_cmp_eq_u64_e32 vcc, 0, v[18:19]
	v_cndmask_b32_e32 v19, v19, v21, vcc
	v_cndmask_b32_e32 v18, v18, v5, vcc
	v_and_b32_e32 v1, v19, v1
	v_and_b32_e32 v0, v18, v0
	v_mul_lo_u32 v1, v1, 24
	v_mul_hi_u32 v2, v0, 24
	v_mul_lo_u32 v0, v0, 24
	v_add_u32_e32 v1, v2, v1
	s_waitcnt vmcnt(0)
	v_add_co_u32_e32 v0, vcc, v22, v0
	v_addc_co_u32_e32 v1, vcc, v23, v1, vcc
	v_mov_b32_e32 v20, v6
	global_store_dwordx2 v[0:1], v[6:7], off
	v_mov_b32_e32 v21, v7
	buffer_wbl2
	s_waitcnt vmcnt(0)
	global_atomic_cmpswap_x2 v[20:21], v3, v[18:21], s[2:3] offset:24 glc
	s_waitcnt vmcnt(0)
	v_cmp_ne_u64_e32 vcc, v[20:21], v[6:7]
	s_and_b64 exec, exec, vcc
	s_cbranch_execz .LBB0_588
; %bb.586:                              ;   in Loop: Header=BB0_141 Depth=1
	s_mov_b64 s[0:1], 0
.LBB0_587:                              ;   Parent Loop BB0_141 Depth=1
                                        ; =>  This Inner Loop Header: Depth=2
	s_sleep 1
	global_store_dwordx2 v[0:1], v[20:21], off
	buffer_wbl2
	s_waitcnt vmcnt(0)
	global_atomic_cmpswap_x2 v[6:7], v3, v[18:21], s[2:3] offset:24 glc
	s_waitcnt vmcnt(0)
	v_cmp_eq_u64_e32 vcc, v[6:7], v[20:21]
	s_or_b64 s[0:1], vcc, s[0:1]
	v_pk_mov_b32 v[20:21], v[6:7], v[6:7] op_sel:[0,1]
	s_andn2_b64 exec, exec, s[0:1]
	s_cbranch_execnz .LBB0_587
.LBB0_588:                              ;   in Loop: Header=BB0_141 Depth=1
	s_or_b64 exec, exec, s[28:29]
	v_readfirstlane_b32 s0, v42
	v_cmp_eq_u32_e64 s[0:1], s0, v42
	v_pk_mov_b32 v[0:1], 0, 0
	s_and_saveexec_b64 s[26:27], s[0:1]
	s_cbranch_execz .LBB0_594
; %bb.589:                              ;   in Loop: Header=BB0_141 Depth=1
	global_load_dwordx2 v[20:21], v3, s[2:3] offset:24 glc
	s_waitcnt vmcnt(0)
	buffer_invl2
	buffer_wbinvl1_vol
	global_load_dwordx2 v[0:1], v3, s[2:3] offset:40
	global_load_dwordx2 v[6:7], v3, s[2:3]
	s_waitcnt vmcnt(1)
	v_and_b32_e32 v0, v0, v20
	v_and_b32_e32 v1, v1, v21
	v_mul_lo_u32 v1, v1, 24
	v_mul_hi_u32 v2, v0, 24
	v_mul_lo_u32 v0, v0, 24
	v_add_u32_e32 v1, v2, v1
	s_waitcnt vmcnt(0)
	v_add_co_u32_e32 v0, vcc, v6, v0
	v_addc_co_u32_e32 v1, vcc, v7, v1, vcc
	global_load_dwordx2 v[18:19], v[0:1], off glc
	s_waitcnt vmcnt(0)
	global_atomic_cmpswap_x2 v[0:1], v3, v[18:21], s[2:3] offset:24 glc
	s_waitcnt vmcnt(0)
	buffer_invl2
	buffer_wbinvl1_vol
	v_cmp_ne_u64_e32 vcc, v[0:1], v[20:21]
	s_and_saveexec_b64 s[28:29], vcc
	s_cbranch_execz .LBB0_593
; %bb.590:                              ;   in Loop: Header=BB0_141 Depth=1
	s_mov_b64 s[30:31], 0
.LBB0_591:                              ;   Parent Loop BB0_141 Depth=1
                                        ; =>  This Inner Loop Header: Depth=2
	s_sleep 1
	global_load_dwordx2 v[6:7], v3, s[2:3] offset:40
	global_load_dwordx2 v[18:19], v3, s[2:3]
	v_pk_mov_b32 v[20:21], v[0:1], v[0:1] op_sel:[0,1]
	s_waitcnt vmcnt(1)
	v_and_b32_e32 v0, v6, v20
	s_waitcnt vmcnt(0)
	v_mad_u64_u32 v[0:1], s[34:35], v0, 24, v[18:19]
	v_and_b32_e32 v5, v7, v21
	v_mov_b32_e32 v2, v1
	v_mad_u64_u32 v[6:7], s[34:35], v5, 24, v[2:3]
	v_mov_b32_e32 v1, v6
	global_load_dwordx2 v[18:19], v[0:1], off glc
	s_waitcnt vmcnt(0)
	global_atomic_cmpswap_x2 v[0:1], v3, v[18:21], s[2:3] offset:24 glc
	s_waitcnt vmcnt(0)
	buffer_invl2
	buffer_wbinvl1_vol
	v_cmp_eq_u64_e32 vcc, v[0:1], v[20:21]
	s_or_b64 s[30:31], vcc, s[30:31]
	s_andn2_b64 exec, exec, s[30:31]
	s_cbranch_execnz .LBB0_591
; %bb.592:                              ;   in Loop: Header=BB0_141 Depth=1
	s_or_b64 exec, exec, s[30:31]
.LBB0_593:                              ;   in Loop: Header=BB0_141 Depth=1
	s_or_b64 exec, exec, s[28:29]
.LBB0_594:                              ;   in Loop: Header=BB0_141 Depth=1
	s_or_b64 exec, exec, s[26:27]
	global_load_dwordx2 v[6:7], v3, s[2:3] offset:40
	global_load_dwordx4 v[18:21], v3, s[2:3]
	v_readfirstlane_b32 s26, v0
	v_readfirstlane_b32 s27, v1
	s_mov_b64 s[28:29], exec
	s_waitcnt vmcnt(1)
	v_readfirstlane_b32 s30, v6
	v_readfirstlane_b32 s31, v7
	s_and_b64 s[30:31], s[26:27], s[30:31]
	s_mul_i32 s33, s31, 24
	s_mul_hi_u32 s34, s30, 24
	s_mul_i32 s35, s30, 24
	s_add_i32 s33, s34, s33
	v_mov_b32_e32 v1, s33
	s_waitcnt vmcnt(0)
	v_add_co_u32_e32 v0, vcc, s35, v18
	v_addc_co_u32_e32 v1, vcc, v19, v1, vcc
	s_and_saveexec_b64 s[34:35], s[0:1]
	s_cbranch_execz .LBB0_596
; %bb.595:                              ;   in Loop: Header=BB0_141 Depth=1
	v_pk_mov_b32 v[6:7], s[28:29], s[28:29] op_sel:[0,1]
	global_store_dwordx4 v[0:1], v[6:9], off offset:8
.LBB0_596:                              ;   in Loop: Header=BB0_141 Depth=1
	s_or_b64 exec, exec, s[34:35]
	s_lshl_b64 s[28:29], s[30:31], 12
	v_mov_b32_e32 v2, s29
	v_add_co_u32_e32 v22, vcc, s28, v20
	v_addc_co_u32_e32 v23, vcc, v21, v2, vcc
	v_pk_mov_b32 v[26:27], s[6:7], s[6:7] op_sel:[0,1]
	v_mov_b32_e32 v5, v3
	v_mov_b32_e32 v6, v3
	v_mov_b32_e32 v7, v3
	v_readfirstlane_b32 s28, v22
	v_readfirstlane_b32 s29, v23
	v_pk_mov_b32 v[24:25], s[4:5], s[4:5] op_sel:[0,1]
	s_nop 3
	global_store_dwordx4 v43, v[4:7], s[28:29]
	global_store_dwordx4 v43, v[24:27], s[28:29] offset:16
	global_store_dwordx4 v43, v[24:27], s[28:29] offset:32
	global_store_dwordx4 v43, v[24:27], s[28:29] offset:48
	s_and_saveexec_b64 s[28:29], s[0:1]
	s_cbranch_execz .LBB0_604
; %bb.597:                              ;   in Loop: Header=BB0_141 Depth=1
	global_load_dwordx2 v[26:27], v3, s[2:3] offset:32 glc
	global_load_dwordx2 v[6:7], v3, s[2:3] offset:40
	v_mov_b32_e32 v24, s26
	v_mov_b32_e32 v25, s27
	s_waitcnt vmcnt(0)
	v_readfirstlane_b32 s30, v6
	v_readfirstlane_b32 s31, v7
	s_and_b64 s[30:31], s[30:31], s[26:27]
	s_mul_i32 s31, s31, 24
	s_mul_hi_u32 s33, s30, 24
	s_mul_i32 s30, s30, 24
	s_add_i32 s31, s33, s31
	v_mov_b32_e32 v2, s31
	v_add_co_u32_e32 v6, vcc, s30, v18
	v_addc_co_u32_e32 v7, vcc, v19, v2, vcc
	global_store_dwordx2 v[6:7], v[26:27], off
	buffer_wbl2
	s_waitcnt vmcnt(0)
	global_atomic_cmpswap_x2 v[20:21], v3, v[24:27], s[2:3] offset:32 glc
	s_waitcnt vmcnt(0)
	v_cmp_ne_u64_e32 vcc, v[20:21], v[26:27]
	s_and_saveexec_b64 s[30:31], vcc
	s_cbranch_execz .LBB0_600
; %bb.598:                              ;   in Loop: Header=BB0_141 Depth=1
	s_mov_b64 s[34:35], 0
.LBB0_599:                              ;   Parent Loop BB0_141 Depth=1
                                        ; =>  This Inner Loop Header: Depth=2
	s_sleep 1
	global_store_dwordx2 v[6:7], v[20:21], off
	v_mov_b32_e32 v18, s26
	v_mov_b32_e32 v19, s27
	buffer_wbl2
	s_waitcnt vmcnt(0)
	global_atomic_cmpswap_x2 v[18:19], v3, v[18:21], s[2:3] offset:32 glc
	s_waitcnt vmcnt(0)
	v_cmp_eq_u64_e32 vcc, v[18:19], v[20:21]
	s_or_b64 s[34:35], vcc, s[34:35]
	v_pk_mov_b32 v[20:21], v[18:19], v[18:19] op_sel:[0,1]
	s_andn2_b64 exec, exec, s[34:35]
	s_cbranch_execnz .LBB0_599
.LBB0_600:                              ;   in Loop: Header=BB0_141 Depth=1
	s_or_b64 exec, exec, s[30:31]
	global_load_dwordx2 v[6:7], v3, s[2:3] offset:16
	s_mov_b64 s[34:35], exec
	v_mbcnt_lo_u32_b32 v2, s34, 0
	v_mbcnt_hi_u32_b32 v2, s35, v2
	v_cmp_eq_u32_e32 vcc, 0, v2
	s_and_saveexec_b64 s[30:31], vcc
	s_cbranch_execz .LBB0_602
; %bb.601:                              ;   in Loop: Header=BB0_141 Depth=1
	s_bcnt1_i32_b64 s33, s[34:35]
	v_mov_b32_e32 v2, s33
	buffer_wbl2
	s_waitcnt vmcnt(0)
	global_atomic_add_x2 v[6:7], v[2:3], off offset:8
.LBB0_602:                              ;   in Loop: Header=BB0_141 Depth=1
	s_or_b64 exec, exec, s[30:31]
	s_waitcnt vmcnt(0)
	global_load_dwordx2 v[18:19], v[6:7], off offset:16
	s_waitcnt vmcnt(0)
	v_cmp_eq_u64_e32 vcc, 0, v[18:19]
	s_cbranch_vccnz .LBB0_604
; %bb.603:                              ;   in Loop: Header=BB0_141 Depth=1
	global_load_dword v2, v[6:7], off offset:24
	buffer_wbl2
	s_waitcnt vmcnt(0)
	global_store_dwordx2 v[18:19], v[2:3], off
	v_and_b32_e32 v2, 0xffffff, v2
	v_readfirstlane_b32 m0, v2
	s_sendmsg sendmsg(MSG_INTERRUPT)
.LBB0_604:                              ;   in Loop: Header=BB0_141 Depth=1
	s_or_b64 exec, exec, s[28:29]
	v_add_co_u32_e32 v6, vcc, v22, v43
	v_addc_co_u32_e32 v7, vcc, 0, v23, vcc
	s_branch .LBB0_608
.LBB0_605:                              ;   in Loop: Header=BB0_608 Depth=2
	s_or_b64 exec, exec, s[28:29]
	v_readfirstlane_b32 s28, v2
	s_cmp_eq_u32 s28, 0
	s_cbranch_scc1 .LBB0_607
; %bb.606:                              ;   in Loop: Header=BB0_608 Depth=2
	s_sleep 1
	s_cbranch_execnz .LBB0_608
	s_branch .LBB0_610
.LBB0_607:                              ;   in Loop: Header=BB0_141 Depth=1
	s_branch .LBB0_610
.LBB0_608:                              ;   Parent Loop BB0_141 Depth=1
                                        ; =>  This Inner Loop Header: Depth=2
	v_mov_b32_e32 v2, 1
	s_and_saveexec_b64 s[28:29], s[0:1]
	s_cbranch_execz .LBB0_605
; %bb.609:                              ;   in Loop: Header=BB0_608 Depth=2
	global_load_dword v2, v[0:1], off offset:20 glc
	s_waitcnt vmcnt(0)
	buffer_invl2
	buffer_wbinvl1_vol
	v_and_b32_e32 v2, 1, v2
	s_branch .LBB0_605
.LBB0_610:                              ;   in Loop: Header=BB0_141 Depth=1
	global_load_dwordx2 v[0:1], v[6:7], off
	s_and_saveexec_b64 s[28:29], s[0:1]
	s_cbranch_execz .LBB0_614
; %bb.611:                              ;   in Loop: Header=BB0_141 Depth=1
	global_load_dwordx2 v[6:7], v3, s[2:3] offset:40
	global_load_dwordx2 v[22:23], v3, s[2:3] offset:24 glc
	global_load_dwordx2 v[24:25], v3, s[2:3]
	v_mov_b32_e32 v2, s27
	s_waitcnt vmcnt(2)
	v_add_co_u32_e32 v5, vcc, 1, v6
	v_addc_co_u32_e32 v21, vcc, 0, v7, vcc
	v_add_co_u32_e32 v18, vcc, s26, v5
	v_addc_co_u32_e32 v19, vcc, v21, v2, vcc
	v_cmp_eq_u64_e32 vcc, 0, v[18:19]
	v_cndmask_b32_e32 v19, v19, v21, vcc
	v_cndmask_b32_e32 v18, v18, v5, vcc
	v_and_b32_e32 v2, v19, v7
	v_and_b32_e32 v5, v18, v6
	v_mul_lo_u32 v2, v2, 24
	v_mul_hi_u32 v6, v5, 24
	v_mul_lo_u32 v5, v5, 24
	v_add_u32_e32 v2, v6, v2
	s_waitcnt vmcnt(0)
	v_add_co_u32_e32 v6, vcc, v24, v5
	v_addc_co_u32_e32 v7, vcc, v25, v2, vcc
	v_mov_b32_e32 v20, v22
	global_store_dwordx2 v[6:7], v[22:23], off
	v_mov_b32_e32 v21, v23
	buffer_wbl2
	s_waitcnt vmcnt(0)
	global_atomic_cmpswap_x2 v[20:21], v3, v[18:21], s[2:3] offset:24 glc
	s_waitcnt vmcnt(0)
	v_cmp_ne_u64_e32 vcc, v[20:21], v[22:23]
	s_and_b64 exec, exec, vcc
	s_cbranch_execz .LBB0_614
; %bb.612:                              ;   in Loop: Header=BB0_141 Depth=1
	s_mov_b64 s[0:1], 0
.LBB0_613:                              ;   Parent Loop BB0_141 Depth=1
                                        ; =>  This Inner Loop Header: Depth=2
	s_sleep 1
	global_store_dwordx2 v[6:7], v[20:21], off
	buffer_wbl2
	s_waitcnt vmcnt(0)
	global_atomic_cmpswap_x2 v[22:23], v3, v[18:21], s[2:3] offset:24 glc
	s_waitcnt vmcnt(0)
	v_cmp_eq_u64_e32 vcc, v[22:23], v[20:21]
	s_or_b64 s[0:1], vcc, s[0:1]
	v_pk_mov_b32 v[20:21], v[22:23], v[22:23] op_sel:[0,1]
	s_andn2_b64 exec, exec, s[0:1]
	s_cbranch_execnz .LBB0_613
.LBB0_614:                              ;   in Loop: Header=BB0_141 Depth=1
	s_or_b64 exec, exec, s[28:29]
	s_and_b64 vcc, exec, s[24:25]
	s_cbranch_vccz .LBB0_699
; %bb.615:                              ;   in Loop: Header=BB0_141 Depth=1
	s_waitcnt vmcnt(0)
	v_and_b32_e32 v38, 2, v0
	v_and_b32_e32 v18, -3, v0
	v_mov_b32_e32 v19, v1
	s_mov_b64 s[28:29], 6
	s_getpc_b64 s[26:27]
	s_add_u32 s26, s26, .str.5@rel32@lo+4
	s_addc_u32 s27, s27, .str.5@rel32@hi+12
	s_branch .LBB0_617
.LBB0_616:                              ;   in Loop: Header=BB0_617 Depth=2
	s_or_b64 exec, exec, s[36:37]
	s_sub_u32 s28, s28, s30
	s_subb_u32 s29, s29, s31
	s_add_u32 s26, s26, s30
	s_addc_u32 s27, s27, s31
	s_cmp_lg_u64 s[28:29], 0
	s_cbranch_scc0 .LBB0_698
.LBB0_617:                              ;   Parent Loop BB0_141 Depth=1
                                        ; =>  This Loop Header: Depth=2
                                        ;       Child Loop BB0_620 Depth 3
                                        ;       Child Loop BB0_627 Depth 3
	;; [unrolled: 1-line block ×11, first 2 shown]
	v_cmp_lt_u64_e64 s[0:1], s[28:29], 56
	s_and_b64 s[0:1], s[0:1], exec
	v_cmp_gt_u64_e64 s[0:1], s[28:29], 7
	s_cselect_b32 s31, s29, 0
	s_cselect_b32 s30, s28, 56
	s_and_b64 vcc, exec, s[0:1]
	s_cbranch_vccnz .LBB0_622
; %bb.618:                              ;   in Loop: Header=BB0_617 Depth=2
	s_mov_b64 s[0:1], 0
	s_cmp_eq_u64 s[28:29], 0
	s_waitcnt vmcnt(0)
	v_pk_mov_b32 v[20:21], 0, 0
	s_cbranch_scc1 .LBB0_621
; %bb.619:                              ;   in Loop: Header=BB0_617 Depth=2
	s_lshl_b64 s[34:35], s[30:31], 3
	s_mov_b64 s[36:37], 0
	v_pk_mov_b32 v[20:21], 0, 0
	s_mov_b64 s[38:39], s[26:27]
.LBB0_620:                              ;   Parent Loop BB0_141 Depth=1
                                        ;     Parent Loop BB0_617 Depth=2
                                        ; =>    This Inner Loop Header: Depth=3
	global_load_ubyte v2, v3, s[38:39]
	s_waitcnt vmcnt(0)
	v_and_b32_e32 v2, 0xffff, v2
	v_lshlrev_b64 v[6:7], s36, v[2:3]
	s_add_u32 s36, s36, 8
	s_addc_u32 s37, s37, 0
	s_add_u32 s38, s38, 1
	s_addc_u32 s39, s39, 0
	v_or_b32_e32 v20, v6, v20
	s_cmp_lg_u32 s34, s36
	v_or_b32_e32 v21, v7, v21
	s_cbranch_scc1 .LBB0_620
.LBB0_621:                              ;   in Loop: Header=BB0_617 Depth=2
	s_mov_b32 s33, 0
	s_andn2_b64 vcc, exec, s[0:1]
	s_mov_b64 s[0:1], s[26:27]
	s_cbranch_vccz .LBB0_623
	s_branch .LBB0_624
.LBB0_622:                              ;   in Loop: Header=BB0_617 Depth=2
                                        ; implicit-def: $vgpr20_vgpr21
                                        ; implicit-def: $sgpr33
	s_mov_b64 s[0:1], s[26:27]
.LBB0_623:                              ;   in Loop: Header=BB0_617 Depth=2
	global_load_dwordx2 v[20:21], v3, s[26:27]
	s_add_i32 s33, s30, -8
	s_add_u32 s0, s26, 8
	s_addc_u32 s1, s27, 0
.LBB0_624:                              ;   in Loop: Header=BB0_617 Depth=2
	s_cmp_gt_u32 s33, 7
	s_cbranch_scc1 .LBB0_628
; %bb.625:                              ;   in Loop: Header=BB0_617 Depth=2
	s_cmp_eq_u32 s33, 0
	s_cbranch_scc1 .LBB0_629
; %bb.626:                              ;   in Loop: Header=BB0_617 Depth=2
	s_mov_b64 s[34:35], 0
	v_pk_mov_b32 v[22:23], 0, 0
	s_mov_b64 s[36:37], 0
.LBB0_627:                              ;   Parent Loop BB0_141 Depth=1
                                        ;     Parent Loop BB0_617 Depth=2
                                        ; =>    This Inner Loop Header: Depth=3
	s_add_u32 s38, s0, s36
	s_addc_u32 s39, s1, s37
	global_load_ubyte v2, v3, s[38:39]
	s_add_u32 s36, s36, 1
	s_addc_u32 s37, s37, 0
	s_waitcnt vmcnt(0)
	v_and_b32_e32 v2, 0xffff, v2
	v_lshlrev_b64 v[6:7], s34, v[2:3]
	s_add_u32 s34, s34, 8
	s_addc_u32 s35, s35, 0
	v_or_b32_e32 v22, v6, v22
	s_cmp_lg_u32 s33, s36
	v_or_b32_e32 v23, v7, v23
	s_cbranch_scc1 .LBB0_627
	s_branch .LBB0_630
.LBB0_628:                              ;   in Loop: Header=BB0_617 Depth=2
                                        ; implicit-def: $vgpr22_vgpr23
                                        ; implicit-def: $sgpr38
	s_branch .LBB0_631
.LBB0_629:                              ;   in Loop: Header=BB0_617 Depth=2
	v_pk_mov_b32 v[22:23], 0, 0
.LBB0_630:                              ;   in Loop: Header=BB0_617 Depth=2
	s_mov_b32 s38, 0
	s_cbranch_execnz .LBB0_632
.LBB0_631:                              ;   in Loop: Header=BB0_617 Depth=2
	global_load_dwordx2 v[22:23], v3, s[0:1]
	s_add_i32 s38, s33, -8
	s_add_u32 s0, s0, 8
	s_addc_u32 s1, s1, 0
.LBB0_632:                              ;   in Loop: Header=BB0_617 Depth=2
	s_cmp_gt_u32 s38, 7
	s_cbranch_scc1 .LBB0_636
; %bb.633:                              ;   in Loop: Header=BB0_617 Depth=2
	s_cmp_eq_u32 s38, 0
	s_cbranch_scc1 .LBB0_637
; %bb.634:                              ;   in Loop: Header=BB0_617 Depth=2
	s_mov_b64 s[34:35], 0
	v_pk_mov_b32 v[24:25], 0, 0
	s_mov_b64 s[36:37], 0
.LBB0_635:                              ;   Parent Loop BB0_141 Depth=1
                                        ;     Parent Loop BB0_617 Depth=2
                                        ; =>    This Inner Loop Header: Depth=3
	s_add_u32 s40, s0, s36
	s_addc_u32 s41, s1, s37
	global_load_ubyte v2, v3, s[40:41]
	s_add_u32 s36, s36, 1
	s_addc_u32 s37, s37, 0
	s_waitcnt vmcnt(0)
	v_and_b32_e32 v2, 0xffff, v2
	v_lshlrev_b64 v[6:7], s34, v[2:3]
	s_add_u32 s34, s34, 8
	s_addc_u32 s35, s35, 0
	v_or_b32_e32 v24, v6, v24
	s_cmp_lg_u32 s38, s36
	v_or_b32_e32 v25, v7, v25
	s_cbranch_scc1 .LBB0_635
	s_branch .LBB0_638
.LBB0_636:                              ;   in Loop: Header=BB0_617 Depth=2
                                        ; implicit-def: $sgpr33
	s_branch .LBB0_639
.LBB0_637:                              ;   in Loop: Header=BB0_617 Depth=2
	v_pk_mov_b32 v[24:25], 0, 0
.LBB0_638:                              ;   in Loop: Header=BB0_617 Depth=2
	s_mov_b32 s33, 0
	s_cbranch_execnz .LBB0_640
.LBB0_639:                              ;   in Loop: Header=BB0_617 Depth=2
	global_load_dwordx2 v[24:25], v3, s[0:1]
	s_add_i32 s33, s38, -8
	s_add_u32 s0, s0, 8
	s_addc_u32 s1, s1, 0
.LBB0_640:                              ;   in Loop: Header=BB0_617 Depth=2
	s_cmp_gt_u32 s33, 7
	s_cbranch_scc1 .LBB0_644
; %bb.641:                              ;   in Loop: Header=BB0_617 Depth=2
	s_cmp_eq_u32 s33, 0
	s_cbranch_scc1 .LBB0_645
; %bb.642:                              ;   in Loop: Header=BB0_617 Depth=2
	s_mov_b64 s[34:35], 0
	v_pk_mov_b32 v[26:27], 0, 0
	s_mov_b64 s[36:37], 0
.LBB0_643:                              ;   Parent Loop BB0_141 Depth=1
                                        ;     Parent Loop BB0_617 Depth=2
                                        ; =>    This Inner Loop Header: Depth=3
	s_add_u32 s38, s0, s36
	s_addc_u32 s39, s1, s37
	global_load_ubyte v2, v3, s[38:39]
	s_add_u32 s36, s36, 1
	s_addc_u32 s37, s37, 0
	s_waitcnt vmcnt(0)
	v_and_b32_e32 v2, 0xffff, v2
	v_lshlrev_b64 v[6:7], s34, v[2:3]
	s_add_u32 s34, s34, 8
	s_addc_u32 s35, s35, 0
	v_or_b32_e32 v26, v6, v26
	s_cmp_lg_u32 s33, s36
	v_or_b32_e32 v27, v7, v27
	s_cbranch_scc1 .LBB0_643
	s_branch .LBB0_646
.LBB0_644:                              ;   in Loop: Header=BB0_617 Depth=2
                                        ; implicit-def: $vgpr26_vgpr27
                                        ; implicit-def: $sgpr38
	s_branch .LBB0_647
.LBB0_645:                              ;   in Loop: Header=BB0_617 Depth=2
	v_pk_mov_b32 v[26:27], 0, 0
.LBB0_646:                              ;   in Loop: Header=BB0_617 Depth=2
	s_mov_b32 s38, 0
	s_cbranch_execnz .LBB0_648
.LBB0_647:                              ;   in Loop: Header=BB0_617 Depth=2
	global_load_dwordx2 v[26:27], v3, s[0:1]
	s_add_i32 s38, s33, -8
	s_add_u32 s0, s0, 8
	s_addc_u32 s1, s1, 0
.LBB0_648:                              ;   in Loop: Header=BB0_617 Depth=2
	s_cmp_gt_u32 s38, 7
	s_cbranch_scc1 .LBB0_652
; %bb.649:                              ;   in Loop: Header=BB0_617 Depth=2
	s_cmp_eq_u32 s38, 0
	s_cbranch_scc1 .LBB0_653
; %bb.650:                              ;   in Loop: Header=BB0_617 Depth=2
	s_mov_b64 s[34:35], 0
	v_pk_mov_b32 v[28:29], 0, 0
	s_mov_b64 s[36:37], 0
.LBB0_651:                              ;   Parent Loop BB0_141 Depth=1
                                        ;     Parent Loop BB0_617 Depth=2
                                        ; =>    This Inner Loop Header: Depth=3
	s_add_u32 s40, s0, s36
	s_addc_u32 s41, s1, s37
	global_load_ubyte v2, v3, s[40:41]
	s_add_u32 s36, s36, 1
	s_addc_u32 s37, s37, 0
	s_waitcnt vmcnt(0)
	v_and_b32_e32 v2, 0xffff, v2
	v_lshlrev_b64 v[6:7], s34, v[2:3]
	s_add_u32 s34, s34, 8
	s_addc_u32 s35, s35, 0
	v_or_b32_e32 v28, v6, v28
	s_cmp_lg_u32 s38, s36
	v_or_b32_e32 v29, v7, v29
	s_cbranch_scc1 .LBB0_651
	s_branch .LBB0_654
.LBB0_652:                              ;   in Loop: Header=BB0_617 Depth=2
                                        ; implicit-def: $sgpr33
	s_branch .LBB0_655
.LBB0_653:                              ;   in Loop: Header=BB0_617 Depth=2
	v_pk_mov_b32 v[28:29], 0, 0
.LBB0_654:                              ;   in Loop: Header=BB0_617 Depth=2
	s_mov_b32 s33, 0
	s_cbranch_execnz .LBB0_656
.LBB0_655:                              ;   in Loop: Header=BB0_617 Depth=2
	global_load_dwordx2 v[28:29], v3, s[0:1]
	s_add_i32 s33, s38, -8
	s_add_u32 s0, s0, 8
	s_addc_u32 s1, s1, 0
.LBB0_656:                              ;   in Loop: Header=BB0_617 Depth=2
	s_cmp_gt_u32 s33, 7
	s_cbranch_scc1 .LBB0_660
; %bb.657:                              ;   in Loop: Header=BB0_617 Depth=2
	s_cmp_eq_u32 s33, 0
	s_cbranch_scc1 .LBB0_661
; %bb.658:                              ;   in Loop: Header=BB0_617 Depth=2
	s_mov_b64 s[34:35], 0
	v_pk_mov_b32 v[30:31], 0, 0
	s_mov_b64 s[36:37], 0
.LBB0_659:                              ;   Parent Loop BB0_141 Depth=1
                                        ;     Parent Loop BB0_617 Depth=2
                                        ; =>    This Inner Loop Header: Depth=3
	s_add_u32 s38, s0, s36
	s_addc_u32 s39, s1, s37
	global_load_ubyte v2, v3, s[38:39]
	s_add_u32 s36, s36, 1
	s_addc_u32 s37, s37, 0
	s_waitcnt vmcnt(0)
	v_and_b32_e32 v2, 0xffff, v2
	v_lshlrev_b64 v[6:7], s34, v[2:3]
	s_add_u32 s34, s34, 8
	s_addc_u32 s35, s35, 0
	v_or_b32_e32 v30, v6, v30
	s_cmp_lg_u32 s33, s36
	v_or_b32_e32 v31, v7, v31
	s_cbranch_scc1 .LBB0_659
	s_branch .LBB0_662
.LBB0_660:                              ;   in Loop: Header=BB0_617 Depth=2
                                        ; implicit-def: $vgpr30_vgpr31
                                        ; implicit-def: $sgpr38
	s_branch .LBB0_663
.LBB0_661:                              ;   in Loop: Header=BB0_617 Depth=2
	v_pk_mov_b32 v[30:31], 0, 0
.LBB0_662:                              ;   in Loop: Header=BB0_617 Depth=2
	s_mov_b32 s38, 0
	s_cbranch_execnz .LBB0_664
.LBB0_663:                              ;   in Loop: Header=BB0_617 Depth=2
	global_load_dwordx2 v[30:31], v3, s[0:1]
	s_add_i32 s38, s33, -8
	s_add_u32 s0, s0, 8
	s_addc_u32 s1, s1, 0
.LBB0_664:                              ;   in Loop: Header=BB0_617 Depth=2
	s_cmp_gt_u32 s38, 7
	s_cbranch_scc1 .LBB0_668
; %bb.665:                              ;   in Loop: Header=BB0_617 Depth=2
	s_cmp_eq_u32 s38, 0
	s_cbranch_scc1 .LBB0_669
; %bb.666:                              ;   in Loop: Header=BB0_617 Depth=2
	s_mov_b64 s[34:35], 0
	v_pk_mov_b32 v[32:33], 0, 0
	s_mov_b64 s[36:37], s[0:1]
.LBB0_667:                              ;   Parent Loop BB0_141 Depth=1
                                        ;     Parent Loop BB0_617 Depth=2
                                        ; =>    This Inner Loop Header: Depth=3
	global_load_ubyte v2, v3, s[36:37]
	s_add_i32 s38, s38, -1
	s_waitcnt vmcnt(0)
	v_and_b32_e32 v2, 0xffff, v2
	v_lshlrev_b64 v[6:7], s34, v[2:3]
	s_add_u32 s34, s34, 8
	s_addc_u32 s35, s35, 0
	s_add_u32 s36, s36, 1
	s_addc_u32 s37, s37, 0
	v_or_b32_e32 v32, v6, v32
	s_cmp_lg_u32 s38, 0
	v_or_b32_e32 v33, v7, v33
	s_cbranch_scc1 .LBB0_667
	s_branch .LBB0_670
.LBB0_668:                              ;   in Loop: Header=BB0_617 Depth=2
	s_branch .LBB0_671
.LBB0_669:                              ;   in Loop: Header=BB0_617 Depth=2
	v_pk_mov_b32 v[32:33], 0, 0
.LBB0_670:                              ;   in Loop: Header=BB0_617 Depth=2
	s_cbranch_execnz .LBB0_672
.LBB0_671:                              ;   in Loop: Header=BB0_617 Depth=2
	global_load_dwordx2 v[32:33], v3, s[0:1]
.LBB0_672:                              ;   in Loop: Header=BB0_617 Depth=2
	v_readfirstlane_b32 s0, v42
	v_cmp_eq_u32_e64 s[0:1], s0, v42
	v_pk_mov_b32 v[6:7], 0, 0
	s_and_saveexec_b64 s[34:35], s[0:1]
	s_cbranch_execz .LBB0_678
; %bb.673:                              ;   in Loop: Header=BB0_617 Depth=2
	global_load_dwordx2 v[36:37], v3, s[2:3] offset:24 glc
	s_waitcnt vmcnt(0)
	buffer_invl2
	buffer_wbinvl1_vol
	global_load_dwordx2 v[6:7], v3, s[2:3] offset:40
	global_load_dwordx2 v[34:35], v3, s[2:3]
	s_waitcnt vmcnt(1)
	v_and_b32_e32 v2, v6, v36
	v_and_b32_e32 v5, v7, v37
	v_mul_lo_u32 v5, v5, 24
	v_mul_hi_u32 v6, v2, 24
	v_mul_lo_u32 v2, v2, 24
	v_add_u32_e32 v5, v6, v5
	s_waitcnt vmcnt(0)
	v_add_co_u32_e32 v6, vcc, v34, v2
	v_addc_co_u32_e32 v7, vcc, v35, v5, vcc
	global_load_dwordx2 v[34:35], v[6:7], off glc
	s_waitcnt vmcnt(0)
	global_atomic_cmpswap_x2 v[6:7], v3, v[34:37], s[2:3] offset:24 glc
	s_waitcnt vmcnt(0)
	buffer_invl2
	buffer_wbinvl1_vol
	v_cmp_ne_u64_e32 vcc, v[6:7], v[36:37]
	s_and_saveexec_b64 s[36:37], vcc
	s_cbranch_execz .LBB0_677
; %bb.674:                              ;   in Loop: Header=BB0_617 Depth=2
	s_mov_b64 s[38:39], 0
.LBB0_675:                              ;   Parent Loop BB0_141 Depth=1
                                        ;     Parent Loop BB0_617 Depth=2
                                        ; =>    This Inner Loop Header: Depth=3
	s_sleep 1
	global_load_dwordx2 v[34:35], v3, s[2:3] offset:40
	global_load_dwordx2 v[40:41], v3, s[2:3]
	v_pk_mov_b32 v[36:37], v[6:7], v[6:7] op_sel:[0,1]
	s_waitcnt vmcnt(1)
	v_and_b32_e32 v2, v34, v36
	s_waitcnt vmcnt(0)
	v_mad_u64_u32 v[6:7], s[40:41], v2, 24, v[40:41]
	v_and_b32_e32 v5, v35, v37
	v_mov_b32_e32 v2, v7
	v_mad_u64_u32 v[34:35], s[40:41], v5, 24, v[2:3]
	v_mov_b32_e32 v7, v34
	global_load_dwordx2 v[34:35], v[6:7], off glc
	s_waitcnt vmcnt(0)
	global_atomic_cmpswap_x2 v[6:7], v3, v[34:37], s[2:3] offset:24 glc
	s_waitcnt vmcnt(0)
	buffer_invl2
	buffer_wbinvl1_vol
	v_cmp_eq_u64_e32 vcc, v[6:7], v[36:37]
	s_or_b64 s[38:39], vcc, s[38:39]
	s_andn2_b64 exec, exec, s[38:39]
	s_cbranch_execnz .LBB0_675
; %bb.676:                              ;   in Loop: Header=BB0_617 Depth=2
	s_or_b64 exec, exec, s[38:39]
.LBB0_677:                              ;   in Loop: Header=BB0_617 Depth=2
	s_or_b64 exec, exec, s[36:37]
.LBB0_678:                              ;   in Loop: Header=BB0_617 Depth=2
	s_or_b64 exec, exec, s[34:35]
	global_load_dwordx2 v[40:41], v3, s[2:3] offset:40
	global_load_dwordx4 v[34:37], v3, s[2:3]
	v_readfirstlane_b32 s34, v6
	v_readfirstlane_b32 s35, v7
	s_mov_b64 s[36:37], exec
	s_waitcnt vmcnt(1)
	v_readfirstlane_b32 s38, v40
	v_readfirstlane_b32 s39, v41
	s_and_b64 s[38:39], s[34:35], s[38:39]
	s_mul_i32 s33, s39, 24
	s_mul_hi_u32 s40, s38, 24
	s_mul_i32 s41, s38, 24
	s_add_i32 s33, s40, s33
	v_mov_b32_e32 v2, s33
	s_waitcnt vmcnt(0)
	v_add_co_u32_e32 v40, vcc, s41, v34
	v_addc_co_u32_e32 v41, vcc, v35, v2, vcc
	s_and_saveexec_b64 s[40:41], s[0:1]
	s_cbranch_execz .LBB0_680
; %bb.679:                              ;   in Loop: Header=BB0_617 Depth=2
	v_pk_mov_b32 v[6:7], s[36:37], s[36:37] op_sel:[0,1]
	global_store_dwordx4 v[40:41], v[6:9], off offset:8
.LBB0_680:                              ;   in Loop: Header=BB0_617 Depth=2
	s_or_b64 exec, exec, s[40:41]
	s_lshl_b64 s[36:37], s[38:39], 12
	v_mov_b32_e32 v2, s37
	v_add_co_u32_e32 v6, vcc, s36, v36
	v_addc_co_u32_e32 v5, vcc, v37, v2, vcc
	v_or_b32_e32 v2, 0, v19
	v_or_b32_e32 v7, v18, v38
	v_cmp_gt_u64_e64 vcc, s[28:29], 56
	s_lshl_b32 s33, s30, 2
	v_cndmask_b32_e32 v19, v2, v19, vcc
	v_cndmask_b32_e32 v2, v7, v18, vcc
	s_add_i32 s33, s33, 28
	s_and_b32 s33, s33, 0x1e0
	v_and_b32_e32 v2, 0xffffff1f, v2
	v_or_b32_e32 v18, s33, v2
	v_readfirstlane_b32 s36, v6
	v_readfirstlane_b32 s37, v5
	s_nop 4
	global_store_dwordx4 v43, v[18:21], s[36:37]
	global_store_dwordx4 v43, v[22:25], s[36:37] offset:16
	global_store_dwordx4 v43, v[26:29], s[36:37] offset:32
	;; [unrolled: 1-line block ×3, first 2 shown]
	s_and_saveexec_b64 s[36:37], s[0:1]
	s_cbranch_execz .LBB0_688
; %bb.681:                              ;   in Loop: Header=BB0_617 Depth=2
	global_load_dwordx2 v[26:27], v3, s[2:3] offset:32 glc
	global_load_dwordx2 v[18:19], v3, s[2:3] offset:40
	v_mov_b32_e32 v24, s34
	v_mov_b32_e32 v25, s35
	s_waitcnt vmcnt(0)
	v_readfirstlane_b32 s38, v18
	v_readfirstlane_b32 s39, v19
	s_and_b64 s[38:39], s[38:39], s[34:35]
	s_mul_i32 s33, s39, 24
	s_mul_hi_u32 s39, s38, 24
	s_mul_i32 s38, s38, 24
	s_add_i32 s33, s39, s33
	v_mov_b32_e32 v2, s33
	v_add_co_u32_e32 v22, vcc, s38, v34
	v_addc_co_u32_e32 v23, vcc, v35, v2, vcc
	global_store_dwordx2 v[22:23], v[26:27], off
	buffer_wbl2
	s_waitcnt vmcnt(0)
	global_atomic_cmpswap_x2 v[20:21], v3, v[24:27], s[2:3] offset:32 glc
	s_waitcnt vmcnt(0)
	v_cmp_ne_u64_e32 vcc, v[20:21], v[26:27]
	s_and_saveexec_b64 s[38:39], vcc
	s_cbranch_execz .LBB0_684
; %bb.682:                              ;   in Loop: Header=BB0_617 Depth=2
	s_mov_b64 s[40:41], 0
.LBB0_683:                              ;   Parent Loop BB0_141 Depth=1
                                        ;     Parent Loop BB0_617 Depth=2
                                        ; =>    This Inner Loop Header: Depth=3
	s_sleep 1
	global_store_dwordx2 v[22:23], v[20:21], off
	v_mov_b32_e32 v18, s34
	v_mov_b32_e32 v19, s35
	buffer_wbl2
	s_waitcnt vmcnt(0)
	global_atomic_cmpswap_x2 v[18:19], v3, v[18:21], s[2:3] offset:32 glc
	s_waitcnt vmcnt(0)
	v_cmp_eq_u64_e32 vcc, v[18:19], v[20:21]
	s_or_b64 s[40:41], vcc, s[40:41]
	v_pk_mov_b32 v[20:21], v[18:19], v[18:19] op_sel:[0,1]
	s_andn2_b64 exec, exec, s[40:41]
	s_cbranch_execnz .LBB0_683
.LBB0_684:                              ;   in Loop: Header=BB0_617 Depth=2
	s_or_b64 exec, exec, s[38:39]
	global_load_dwordx2 v[18:19], v3, s[2:3] offset:16
	s_mov_b64 s[40:41], exec
	v_mbcnt_lo_u32_b32 v2, s40, 0
	v_mbcnt_hi_u32_b32 v2, s41, v2
	v_cmp_eq_u32_e32 vcc, 0, v2
	s_and_saveexec_b64 s[38:39], vcc
	s_cbranch_execz .LBB0_686
; %bb.685:                              ;   in Loop: Header=BB0_617 Depth=2
	s_bcnt1_i32_b64 s33, s[40:41]
	v_mov_b32_e32 v2, s33
	buffer_wbl2
	s_waitcnt vmcnt(0)
	global_atomic_add_x2 v[18:19], v[2:3], off offset:8
.LBB0_686:                              ;   in Loop: Header=BB0_617 Depth=2
	s_or_b64 exec, exec, s[38:39]
	s_waitcnt vmcnt(0)
	global_load_dwordx2 v[20:21], v[18:19], off offset:16
	s_waitcnt vmcnt(0)
	v_cmp_eq_u64_e32 vcc, 0, v[20:21]
	s_cbranch_vccnz .LBB0_688
; %bb.687:                              ;   in Loop: Header=BB0_617 Depth=2
	global_load_dword v2, v[18:19], off offset:24
	buffer_wbl2
	s_waitcnt vmcnt(0)
	global_store_dwordx2 v[20:21], v[2:3], off
	v_and_b32_e32 v2, 0xffffff, v2
	v_readfirstlane_b32 m0, v2
	s_sendmsg sendmsg(MSG_INTERRUPT)
.LBB0_688:                              ;   in Loop: Header=BB0_617 Depth=2
	s_or_b64 exec, exec, s[36:37]
	v_add_co_u32_e32 v6, vcc, v6, v43
	v_addc_co_u32_e32 v7, vcc, 0, v5, vcc
	s_branch .LBB0_692
.LBB0_689:                              ;   in Loop: Header=BB0_692 Depth=3
	s_or_b64 exec, exec, s[36:37]
	v_readfirstlane_b32 s33, v2
	s_cmp_eq_u32 s33, 0
	s_cbranch_scc1 .LBB0_691
; %bb.690:                              ;   in Loop: Header=BB0_692 Depth=3
	s_sleep 1
	s_cbranch_execnz .LBB0_692
	s_branch .LBB0_694
.LBB0_691:                              ;   in Loop: Header=BB0_617 Depth=2
	s_branch .LBB0_694
.LBB0_692:                              ;   Parent Loop BB0_141 Depth=1
                                        ;     Parent Loop BB0_617 Depth=2
                                        ; =>    This Inner Loop Header: Depth=3
	v_mov_b32_e32 v2, 1
	s_and_saveexec_b64 s[36:37], s[0:1]
	s_cbranch_execz .LBB0_689
; %bb.693:                              ;   in Loop: Header=BB0_692 Depth=3
	global_load_dword v2, v[40:41], off offset:20 glc
	s_waitcnt vmcnt(0)
	buffer_invl2
	buffer_wbinvl1_vol
	v_and_b32_e32 v2, 1, v2
	s_branch .LBB0_689
.LBB0_694:                              ;   in Loop: Header=BB0_617 Depth=2
	global_load_dwordx4 v[18:21], v[6:7], off
	s_and_saveexec_b64 s[36:37], s[0:1]
	s_cbranch_execz .LBB0_616
; %bb.695:                              ;   in Loop: Header=BB0_617 Depth=2
	global_load_dwordx2 v[6:7], v3, s[2:3] offset:40
	global_load_dwordx2 v[24:25], v3, s[2:3] offset:24 glc
	global_load_dwordx2 v[26:27], v3, s[2:3]
	v_mov_b32_e32 v2, s35
	s_waitcnt vmcnt(2)
	v_add_co_u32_e32 v5, vcc, 1, v6
	v_addc_co_u32_e32 v23, vcc, 0, v7, vcc
	v_add_co_u32_e32 v20, vcc, s34, v5
	v_addc_co_u32_e32 v21, vcc, v23, v2, vcc
	v_cmp_eq_u64_e32 vcc, 0, v[20:21]
	v_cndmask_b32_e32 v21, v21, v23, vcc
	v_cndmask_b32_e32 v20, v20, v5, vcc
	v_and_b32_e32 v2, v21, v7
	v_and_b32_e32 v5, v20, v6
	v_mul_lo_u32 v2, v2, 24
	v_mul_hi_u32 v6, v5, 24
	v_mul_lo_u32 v5, v5, 24
	v_add_u32_e32 v2, v6, v2
	s_waitcnt vmcnt(0)
	v_add_co_u32_e32 v6, vcc, v26, v5
	v_addc_co_u32_e32 v7, vcc, v27, v2, vcc
	v_mov_b32_e32 v22, v24
	global_store_dwordx2 v[6:7], v[24:25], off
	v_mov_b32_e32 v23, v25
	buffer_wbl2
	s_waitcnt vmcnt(0)
	global_atomic_cmpswap_x2 v[22:23], v3, v[20:23], s[2:3] offset:24 glc
	s_waitcnt vmcnt(0)
	v_cmp_ne_u64_e32 vcc, v[22:23], v[24:25]
	s_and_b64 exec, exec, vcc
	s_cbranch_execz .LBB0_616
; %bb.696:                              ;   in Loop: Header=BB0_617 Depth=2
	s_mov_b64 s[0:1], 0
.LBB0_697:                              ;   Parent Loop BB0_141 Depth=1
                                        ;     Parent Loop BB0_617 Depth=2
                                        ; =>    This Inner Loop Header: Depth=3
	s_sleep 1
	global_store_dwordx2 v[6:7], v[22:23], off
	buffer_wbl2
	s_waitcnt vmcnt(0)
	global_atomic_cmpswap_x2 v[24:25], v3, v[20:23], s[2:3] offset:24 glc
	s_waitcnt vmcnt(0)
	v_cmp_eq_u64_e32 vcc, v[24:25], v[22:23]
	s_or_b64 s[0:1], vcc, s[0:1]
	v_pk_mov_b32 v[22:23], v[24:25], v[24:25] op_sel:[0,1]
	s_andn2_b64 exec, exec, s[0:1]
	s_cbranch_execnz .LBB0_697
	s_branch .LBB0_616
.LBB0_698:                              ;   in Loop: Header=BB0_141 Depth=1
	s_branch .LBB0_727
.LBB0_699:                              ;   in Loop: Header=BB0_141 Depth=1
                                        ; implicit-def: $vgpr18_vgpr19
	s_cbranch_execz .LBB0_727
; %bb.700:                              ;   in Loop: Header=BB0_141 Depth=1
	v_readfirstlane_b32 s0, v42
	v_cmp_eq_u32_e64 s[0:1], s0, v42
	v_pk_mov_b32 v[6:7], 0, 0
	s_and_saveexec_b64 s[26:27], s[0:1]
	s_cbranch_execz .LBB0_706
; %bb.701:                              ;   in Loop: Header=BB0_141 Depth=1
	global_load_dwordx2 v[20:21], v3, s[2:3] offset:24 glc
	s_waitcnt vmcnt(0)
	buffer_invl2
	buffer_wbinvl1_vol
	global_load_dwordx2 v[6:7], v3, s[2:3] offset:40
	global_load_dwordx2 v[18:19], v3, s[2:3]
	s_waitcnt vmcnt(1)
	v_and_b32_e32 v2, v6, v20
	v_and_b32_e32 v5, v7, v21
	v_mul_lo_u32 v5, v5, 24
	v_mul_hi_u32 v6, v2, 24
	v_mul_lo_u32 v2, v2, 24
	v_add_u32_e32 v5, v6, v5
	s_waitcnt vmcnt(0)
	v_add_co_u32_e32 v6, vcc, v18, v2
	v_addc_co_u32_e32 v7, vcc, v19, v5, vcc
	global_load_dwordx2 v[18:19], v[6:7], off glc
	s_waitcnt vmcnt(0)
	global_atomic_cmpswap_x2 v[6:7], v3, v[18:21], s[2:3] offset:24 glc
	s_waitcnt vmcnt(0)
	buffer_invl2
	buffer_wbinvl1_vol
	v_cmp_ne_u64_e32 vcc, v[6:7], v[20:21]
	s_and_saveexec_b64 s[28:29], vcc
	s_cbranch_execz .LBB0_705
; %bb.702:                              ;   in Loop: Header=BB0_141 Depth=1
	s_mov_b64 s[30:31], 0
.LBB0_703:                              ;   Parent Loop BB0_141 Depth=1
                                        ; =>  This Inner Loop Header: Depth=2
	s_sleep 1
	global_load_dwordx2 v[18:19], v3, s[2:3] offset:40
	global_load_dwordx2 v[22:23], v3, s[2:3]
	v_pk_mov_b32 v[20:21], v[6:7], v[6:7] op_sel:[0,1]
	s_waitcnt vmcnt(1)
	v_and_b32_e32 v2, v18, v20
	s_waitcnt vmcnt(0)
	v_mad_u64_u32 v[6:7], s[34:35], v2, 24, v[22:23]
	v_and_b32_e32 v5, v19, v21
	v_mov_b32_e32 v2, v7
	v_mad_u64_u32 v[18:19], s[34:35], v5, 24, v[2:3]
	v_mov_b32_e32 v7, v18
	global_load_dwordx2 v[18:19], v[6:7], off glc
	s_waitcnt vmcnt(0)
	global_atomic_cmpswap_x2 v[6:7], v3, v[18:21], s[2:3] offset:24 glc
	s_waitcnt vmcnt(0)
	buffer_invl2
	buffer_wbinvl1_vol
	v_cmp_eq_u64_e32 vcc, v[6:7], v[20:21]
	s_or_b64 s[30:31], vcc, s[30:31]
	s_andn2_b64 exec, exec, s[30:31]
	s_cbranch_execnz .LBB0_703
; %bb.704:                              ;   in Loop: Header=BB0_141 Depth=1
	s_or_b64 exec, exec, s[30:31]
.LBB0_705:                              ;   in Loop: Header=BB0_141 Depth=1
	s_or_b64 exec, exec, s[28:29]
.LBB0_706:                              ;   in Loop: Header=BB0_141 Depth=1
	s_or_b64 exec, exec, s[26:27]
	global_load_dwordx2 v[22:23], v3, s[2:3] offset:40
	global_load_dwordx4 v[18:21], v3, s[2:3]
	v_readfirstlane_b32 s26, v6
	v_readfirstlane_b32 s27, v7
	s_mov_b64 s[28:29], exec
	s_waitcnt vmcnt(1)
	v_readfirstlane_b32 s30, v22
	v_readfirstlane_b32 s31, v23
	s_and_b64 s[30:31], s[26:27], s[30:31]
	s_mul_i32 s33, s31, 24
	s_mul_hi_u32 s34, s30, 24
	s_mul_i32 s35, s30, 24
	s_add_i32 s33, s34, s33
	v_mov_b32_e32 v2, s33
	s_waitcnt vmcnt(0)
	v_add_co_u32_e32 v22, vcc, s35, v18
	v_addc_co_u32_e32 v23, vcc, v19, v2, vcc
	s_and_saveexec_b64 s[34:35], s[0:1]
	s_cbranch_execz .LBB0_708
; %bb.707:                              ;   in Loop: Header=BB0_141 Depth=1
	v_pk_mov_b32 v[6:7], s[28:29], s[28:29] op_sel:[0,1]
	global_store_dwordx4 v[22:23], v[6:9], off offset:8
.LBB0_708:                              ;   in Loop: Header=BB0_141 Depth=1
	s_or_b64 exec, exec, s[34:35]
	s_lshl_b64 s[28:29], s[30:31], 12
	v_mov_b32_e32 v2, s29
	v_add_co_u32_e32 v6, vcc, s28, v20
	v_addc_co_u32_e32 v5, vcc, v21, v2, vcc
	v_pk_mov_b32 v[26:27], s[6:7], s[6:7] op_sel:[0,1]
	v_and_or_b32 v0, v0, s8, 32
	v_mov_b32_e32 v2, v3
	v_readfirstlane_b32 s28, v6
	v_readfirstlane_b32 s29, v5
	v_pk_mov_b32 v[24:25], s[4:5], s[4:5] op_sel:[0,1]
	s_nop 3
	global_store_dwordx4 v43, v[0:3], s[28:29]
	global_store_dwordx4 v43, v[24:27], s[28:29] offset:16
	global_store_dwordx4 v43, v[24:27], s[28:29] offset:32
	;; [unrolled: 1-line block ×3, first 2 shown]
	s_and_saveexec_b64 s[28:29], s[0:1]
	s_cbranch_execz .LBB0_716
; %bb.709:                              ;   in Loop: Header=BB0_141 Depth=1
	global_load_dwordx2 v[26:27], v3, s[2:3] offset:32 glc
	global_load_dwordx2 v[0:1], v3, s[2:3] offset:40
	v_mov_b32_e32 v24, s26
	v_mov_b32_e32 v25, s27
	s_waitcnt vmcnt(0)
	v_readfirstlane_b32 s30, v0
	v_readfirstlane_b32 s31, v1
	s_and_b64 s[30:31], s[30:31], s[26:27]
	s_mul_i32 s31, s31, 24
	s_mul_hi_u32 s33, s30, 24
	s_mul_i32 s30, s30, 24
	s_add_i32 s31, s33, s31
	v_mov_b32_e32 v1, s31
	v_add_co_u32_e32 v0, vcc, s30, v18
	v_addc_co_u32_e32 v1, vcc, v19, v1, vcc
	global_store_dwordx2 v[0:1], v[26:27], off
	buffer_wbl2
	s_waitcnt vmcnt(0)
	global_atomic_cmpswap_x2 v[20:21], v3, v[24:27], s[2:3] offset:32 glc
	s_waitcnt vmcnt(0)
	v_cmp_ne_u64_e32 vcc, v[20:21], v[26:27]
	s_and_saveexec_b64 s[30:31], vcc
	s_cbranch_execz .LBB0_712
; %bb.710:                              ;   in Loop: Header=BB0_141 Depth=1
	s_mov_b64 s[34:35], 0
.LBB0_711:                              ;   Parent Loop BB0_141 Depth=1
                                        ; =>  This Inner Loop Header: Depth=2
	s_sleep 1
	global_store_dwordx2 v[0:1], v[20:21], off
	v_mov_b32_e32 v18, s26
	v_mov_b32_e32 v19, s27
	buffer_wbl2
	s_waitcnt vmcnt(0)
	global_atomic_cmpswap_x2 v[18:19], v3, v[18:21], s[2:3] offset:32 glc
	s_waitcnt vmcnt(0)
	v_cmp_eq_u64_e32 vcc, v[18:19], v[20:21]
	s_or_b64 s[34:35], vcc, s[34:35]
	v_pk_mov_b32 v[20:21], v[18:19], v[18:19] op_sel:[0,1]
	s_andn2_b64 exec, exec, s[34:35]
	s_cbranch_execnz .LBB0_711
.LBB0_712:                              ;   in Loop: Header=BB0_141 Depth=1
	s_or_b64 exec, exec, s[30:31]
	global_load_dwordx2 v[0:1], v3, s[2:3] offset:16
	s_mov_b64 s[34:35], exec
	v_mbcnt_lo_u32_b32 v2, s34, 0
	v_mbcnt_hi_u32_b32 v2, s35, v2
	v_cmp_eq_u32_e32 vcc, 0, v2
	s_and_saveexec_b64 s[30:31], vcc
	s_cbranch_execz .LBB0_714
; %bb.713:                              ;   in Loop: Header=BB0_141 Depth=1
	s_bcnt1_i32_b64 s33, s[34:35]
	v_mov_b32_e32 v2, s33
	buffer_wbl2
	s_waitcnt vmcnt(0)
	global_atomic_add_x2 v[0:1], v[2:3], off offset:8
.LBB0_714:                              ;   in Loop: Header=BB0_141 Depth=1
	s_or_b64 exec, exec, s[30:31]
	s_waitcnt vmcnt(0)
	global_load_dwordx2 v[18:19], v[0:1], off offset:16
	s_waitcnt vmcnt(0)
	v_cmp_eq_u64_e32 vcc, 0, v[18:19]
	s_cbranch_vccnz .LBB0_716
; %bb.715:                              ;   in Loop: Header=BB0_141 Depth=1
	global_load_dword v2, v[0:1], off offset:24
	s_waitcnt vmcnt(0)
	v_and_b32_e32 v0, 0xffffff, v2
	v_readfirstlane_b32 m0, v0
	buffer_wbl2
	global_store_dwordx2 v[18:19], v[2:3], off
	s_sendmsg sendmsg(MSG_INTERRUPT)
.LBB0_716:                              ;   in Loop: Header=BB0_141 Depth=1
	s_or_b64 exec, exec, s[28:29]
	v_add_co_u32_e32 v0, vcc, v6, v43
	v_addc_co_u32_e32 v1, vcc, 0, v5, vcc
	s_branch .LBB0_720
.LBB0_717:                              ;   in Loop: Header=BB0_720 Depth=2
	s_or_b64 exec, exec, s[28:29]
	v_readfirstlane_b32 s28, v2
	s_cmp_eq_u32 s28, 0
	s_cbranch_scc1 .LBB0_719
; %bb.718:                              ;   in Loop: Header=BB0_720 Depth=2
	s_sleep 1
	s_cbranch_execnz .LBB0_720
	s_branch .LBB0_722
.LBB0_719:                              ;   in Loop: Header=BB0_141 Depth=1
	s_branch .LBB0_722
.LBB0_720:                              ;   Parent Loop BB0_141 Depth=1
                                        ; =>  This Inner Loop Header: Depth=2
	v_mov_b32_e32 v2, 1
	s_and_saveexec_b64 s[28:29], s[0:1]
	s_cbranch_execz .LBB0_717
; %bb.721:                              ;   in Loop: Header=BB0_720 Depth=2
	global_load_dword v2, v[22:23], off offset:20 glc
	s_waitcnt vmcnt(0)
	buffer_invl2
	buffer_wbinvl1_vol
	v_and_b32_e32 v2, 1, v2
	s_branch .LBB0_717
.LBB0_722:                              ;   in Loop: Header=BB0_141 Depth=1
	global_load_dwordx2 v[18:19], v[0:1], off
	s_and_saveexec_b64 s[28:29], s[0:1]
	s_cbranch_execz .LBB0_726
; %bb.723:                              ;   in Loop: Header=BB0_141 Depth=1
	global_load_dwordx2 v[0:1], v3, s[2:3] offset:40
	global_load_dwordx2 v[6:7], v3, s[2:3] offset:24 glc
	global_load_dwordx2 v[24:25], v3, s[2:3]
	v_mov_b32_e32 v2, s27
	s_waitcnt vmcnt(2)
	v_add_co_u32_e32 v5, vcc, 1, v0
	v_addc_co_u32_e32 v23, vcc, 0, v1, vcc
	v_add_co_u32_e32 v20, vcc, s26, v5
	v_addc_co_u32_e32 v21, vcc, v23, v2, vcc
	v_cmp_eq_u64_e32 vcc, 0, v[20:21]
	v_cndmask_b32_e32 v21, v21, v23, vcc
	v_cndmask_b32_e32 v20, v20, v5, vcc
	v_and_b32_e32 v1, v21, v1
	v_and_b32_e32 v0, v20, v0
	v_mul_lo_u32 v1, v1, 24
	v_mul_hi_u32 v2, v0, 24
	v_mul_lo_u32 v0, v0, 24
	v_add_u32_e32 v1, v2, v1
	s_waitcnt vmcnt(0)
	v_add_co_u32_e32 v0, vcc, v24, v0
	v_addc_co_u32_e32 v1, vcc, v25, v1, vcc
	v_mov_b32_e32 v22, v6
	global_store_dwordx2 v[0:1], v[6:7], off
	v_mov_b32_e32 v23, v7
	buffer_wbl2
	s_waitcnt vmcnt(0)
	global_atomic_cmpswap_x2 v[22:23], v3, v[20:23], s[2:3] offset:24 glc
	s_waitcnt vmcnt(0)
	v_cmp_ne_u64_e32 vcc, v[22:23], v[6:7]
	s_and_b64 exec, exec, vcc
	s_cbranch_execz .LBB0_726
; %bb.724:                              ;   in Loop: Header=BB0_141 Depth=1
	s_mov_b64 s[0:1], 0
.LBB0_725:                              ;   Parent Loop BB0_141 Depth=1
                                        ; =>  This Inner Loop Header: Depth=2
	s_sleep 1
	global_store_dwordx2 v[0:1], v[22:23], off
	buffer_wbl2
	s_waitcnt vmcnt(0)
	global_atomic_cmpswap_x2 v[6:7], v3, v[20:23], s[2:3] offset:24 glc
	s_waitcnt vmcnt(0)
	v_cmp_eq_u64_e32 vcc, v[6:7], v[22:23]
	s_or_b64 s[0:1], vcc, s[0:1]
	v_pk_mov_b32 v[22:23], v[6:7], v[6:7] op_sel:[0,1]
	s_andn2_b64 exec, exec, s[0:1]
	s_cbranch_execnz .LBB0_725
.LBB0_726:                              ;   in Loop: Header=BB0_141 Depth=1
	s_or_b64 exec, exec, s[28:29]
.LBB0_727:                              ;   in Loop: Header=BB0_141 Depth=1
	s_and_b32 s28, s19, 1
	s_getpc_b64 s[0:1]
	s_add_u32 s0, s0, .str.4@rel32@lo+4
	s_addc_u32 s1, s1, .str.4@rel32@hi+12
	s_getpc_b64 s[26:27]
	s_add_u32 s26, s26, .str.3@rel32@lo+4
	s_addc_u32 s27, s27, .str.3@rel32@hi+12
	s_cmp_eq_u32 s28, 0
	s_cselect_b32 s27, s1, s27
	s_cselect_b32 s26, s0, s26
	s_cmp_lg_u64 s[26:27], 0
	s_cselect_b64 s[0:1], -1, 0
	s_cmp_eq_u64 s[26:27], 0
	s_mov_b64 s[28:29], 0
	s_cbranch_scc1 .LBB0_731
; %bb.728:                              ;   in Loop: Header=BB0_141 Depth=1
	s_add_u32 s28, s26, -1
	s_addc_u32 s29, s27, -1
.LBB0_729:                              ;   Parent Loop BB0_141 Depth=1
                                        ; =>  This Inner Loop Header: Depth=2
	global_load_ubyte v0, v3, s[28:29] offset:1
	s_add_u32 s30, s28, 1
	s_addc_u32 s31, s29, 0
	s_mov_b64 s[28:29], s[30:31]
	s_waitcnt vmcnt(0)
	v_cmp_ne_u16_e32 vcc, 0, v0
	s_cbranch_vccnz .LBB0_729
; %bb.730:                              ;   in Loop: Header=BB0_141 Depth=1
	s_sub_u32 s28, s30, s26
	s_subb_u32 s29, s31, s27
	s_add_u32 s28, s28, 1
	s_addc_u32 s29, s29, 0
.LBB0_731:                              ;   in Loop: Header=BB0_141 Depth=1
	s_and_b64 vcc, exec, s[0:1]
	s_cbranch_vccz .LBB0_816
; %bb.732:                              ;   in Loop: Header=BB0_141 Depth=1
	s_waitcnt vmcnt(0)
	v_and_b32_e32 v0, 2, v18
	v_and_b32_e32 v20, -3, v18
	v_mov_b32_e32 v21, v19
	s_branch .LBB0_734
.LBB0_733:                              ;   in Loop: Header=BB0_734 Depth=2
	s_or_b64 exec, exec, s[36:37]
	s_sub_u32 s28, s28, s30
	s_subb_u32 s29, s29, s31
	s_add_u32 s26, s26, s30
	s_addc_u32 s27, s27, s31
	s_cmp_lg_u64 s[28:29], 0
	s_cbranch_scc0 .LBB0_815
.LBB0_734:                              ;   Parent Loop BB0_141 Depth=1
                                        ; =>  This Loop Header: Depth=2
                                        ;       Child Loop BB0_737 Depth 3
                                        ;       Child Loop BB0_744 Depth 3
	;; [unrolled: 1-line block ×11, first 2 shown]
	v_cmp_lt_u64_e64 s[0:1], s[28:29], 56
	s_and_b64 s[0:1], s[0:1], exec
	v_cmp_gt_u64_e64 s[0:1], s[28:29], 7
	s_cselect_b32 s31, s29, 0
	s_cselect_b32 s30, s28, 56
	s_and_b64 vcc, exec, s[0:1]
	s_cbranch_vccnz .LBB0_739
; %bb.735:                              ;   in Loop: Header=BB0_734 Depth=2
	s_mov_b64 s[0:1], 0
	s_cmp_eq_u64 s[28:29], 0
	s_waitcnt vmcnt(0)
	v_pk_mov_b32 v[22:23], 0, 0
	s_cbranch_scc1 .LBB0_738
; %bb.736:                              ;   in Loop: Header=BB0_734 Depth=2
	s_lshl_b64 s[34:35], s[30:31], 3
	s_mov_b64 s[36:37], 0
	v_pk_mov_b32 v[22:23], 0, 0
	s_mov_b64 s[38:39], s[26:27]
.LBB0_737:                              ;   Parent Loop BB0_141 Depth=1
                                        ;     Parent Loop BB0_734 Depth=2
                                        ; =>    This Inner Loop Header: Depth=3
	global_load_ubyte v1, v3, s[38:39]
	s_waitcnt vmcnt(0)
	v_and_b32_e32 v2, 0xffff, v1
	v_lshlrev_b64 v[6:7], s36, v[2:3]
	s_add_u32 s36, s36, 8
	s_addc_u32 s37, s37, 0
	s_add_u32 s38, s38, 1
	s_addc_u32 s39, s39, 0
	v_or_b32_e32 v22, v6, v22
	s_cmp_lg_u32 s34, s36
	v_or_b32_e32 v23, v7, v23
	s_cbranch_scc1 .LBB0_737
.LBB0_738:                              ;   in Loop: Header=BB0_734 Depth=2
	s_mov_b32 s33, 0
	s_andn2_b64 vcc, exec, s[0:1]
	s_mov_b64 s[0:1], s[26:27]
	s_cbranch_vccz .LBB0_740
	s_branch .LBB0_741
.LBB0_739:                              ;   in Loop: Header=BB0_734 Depth=2
                                        ; implicit-def: $vgpr22_vgpr23
                                        ; implicit-def: $sgpr33
	s_mov_b64 s[0:1], s[26:27]
.LBB0_740:                              ;   in Loop: Header=BB0_734 Depth=2
	global_load_dwordx2 v[22:23], v3, s[26:27]
	s_add_i32 s33, s30, -8
	s_add_u32 s0, s26, 8
	s_addc_u32 s1, s27, 0
.LBB0_741:                              ;   in Loop: Header=BB0_734 Depth=2
	s_cmp_gt_u32 s33, 7
	s_cbranch_scc1 .LBB0_745
; %bb.742:                              ;   in Loop: Header=BB0_734 Depth=2
	s_cmp_eq_u32 s33, 0
	s_cbranch_scc1 .LBB0_746
; %bb.743:                              ;   in Loop: Header=BB0_734 Depth=2
	s_mov_b64 s[34:35], 0
	v_pk_mov_b32 v[24:25], 0, 0
	s_mov_b64 s[36:37], 0
.LBB0_744:                              ;   Parent Loop BB0_141 Depth=1
                                        ;     Parent Loop BB0_734 Depth=2
                                        ; =>    This Inner Loop Header: Depth=3
	s_add_u32 s38, s0, s36
	s_addc_u32 s39, s1, s37
	global_load_ubyte v1, v3, s[38:39]
	s_add_u32 s36, s36, 1
	s_addc_u32 s37, s37, 0
	s_waitcnt vmcnt(0)
	v_and_b32_e32 v2, 0xffff, v1
	v_lshlrev_b64 v[6:7], s34, v[2:3]
	s_add_u32 s34, s34, 8
	s_addc_u32 s35, s35, 0
	v_or_b32_e32 v24, v6, v24
	s_cmp_lg_u32 s33, s36
	v_or_b32_e32 v25, v7, v25
	s_cbranch_scc1 .LBB0_744
	s_branch .LBB0_747
.LBB0_745:                              ;   in Loop: Header=BB0_734 Depth=2
                                        ; implicit-def: $vgpr24_vgpr25
                                        ; implicit-def: $sgpr38
	s_branch .LBB0_748
.LBB0_746:                              ;   in Loop: Header=BB0_734 Depth=2
	v_pk_mov_b32 v[24:25], 0, 0
.LBB0_747:                              ;   in Loop: Header=BB0_734 Depth=2
	s_mov_b32 s38, 0
	s_cbranch_execnz .LBB0_749
.LBB0_748:                              ;   in Loop: Header=BB0_734 Depth=2
	global_load_dwordx2 v[24:25], v3, s[0:1]
	s_add_i32 s38, s33, -8
	s_add_u32 s0, s0, 8
	s_addc_u32 s1, s1, 0
.LBB0_749:                              ;   in Loop: Header=BB0_734 Depth=2
	s_cmp_gt_u32 s38, 7
	s_cbranch_scc1 .LBB0_753
; %bb.750:                              ;   in Loop: Header=BB0_734 Depth=2
	s_cmp_eq_u32 s38, 0
	s_cbranch_scc1 .LBB0_754
; %bb.751:                              ;   in Loop: Header=BB0_734 Depth=2
	s_mov_b64 s[34:35], 0
	v_pk_mov_b32 v[26:27], 0, 0
	s_mov_b64 s[36:37], 0
.LBB0_752:                              ;   Parent Loop BB0_141 Depth=1
                                        ;     Parent Loop BB0_734 Depth=2
                                        ; =>    This Inner Loop Header: Depth=3
	s_add_u32 s40, s0, s36
	s_addc_u32 s41, s1, s37
	global_load_ubyte v1, v3, s[40:41]
	s_add_u32 s36, s36, 1
	s_addc_u32 s37, s37, 0
	s_waitcnt vmcnt(0)
	v_and_b32_e32 v2, 0xffff, v1
	v_lshlrev_b64 v[6:7], s34, v[2:3]
	s_add_u32 s34, s34, 8
	s_addc_u32 s35, s35, 0
	v_or_b32_e32 v26, v6, v26
	s_cmp_lg_u32 s38, s36
	v_or_b32_e32 v27, v7, v27
	s_cbranch_scc1 .LBB0_752
	s_branch .LBB0_755
.LBB0_753:                              ;   in Loop: Header=BB0_734 Depth=2
                                        ; implicit-def: $sgpr33
	s_branch .LBB0_756
.LBB0_754:                              ;   in Loop: Header=BB0_734 Depth=2
	v_pk_mov_b32 v[26:27], 0, 0
.LBB0_755:                              ;   in Loop: Header=BB0_734 Depth=2
	s_mov_b32 s33, 0
	s_cbranch_execnz .LBB0_757
.LBB0_756:                              ;   in Loop: Header=BB0_734 Depth=2
	global_load_dwordx2 v[26:27], v3, s[0:1]
	s_add_i32 s33, s38, -8
	s_add_u32 s0, s0, 8
	s_addc_u32 s1, s1, 0
.LBB0_757:                              ;   in Loop: Header=BB0_734 Depth=2
	s_cmp_gt_u32 s33, 7
	s_cbranch_scc1 .LBB0_761
; %bb.758:                              ;   in Loop: Header=BB0_734 Depth=2
	s_cmp_eq_u32 s33, 0
	s_cbranch_scc1 .LBB0_762
; %bb.759:                              ;   in Loop: Header=BB0_734 Depth=2
	s_mov_b64 s[34:35], 0
	v_pk_mov_b32 v[28:29], 0, 0
	s_mov_b64 s[36:37], 0
.LBB0_760:                              ;   Parent Loop BB0_141 Depth=1
                                        ;     Parent Loop BB0_734 Depth=2
                                        ; =>    This Inner Loop Header: Depth=3
	s_add_u32 s38, s0, s36
	s_addc_u32 s39, s1, s37
	global_load_ubyte v1, v3, s[38:39]
	s_add_u32 s36, s36, 1
	s_addc_u32 s37, s37, 0
	s_waitcnt vmcnt(0)
	v_and_b32_e32 v2, 0xffff, v1
	v_lshlrev_b64 v[6:7], s34, v[2:3]
	s_add_u32 s34, s34, 8
	s_addc_u32 s35, s35, 0
	v_or_b32_e32 v28, v6, v28
	s_cmp_lg_u32 s33, s36
	v_or_b32_e32 v29, v7, v29
	s_cbranch_scc1 .LBB0_760
	s_branch .LBB0_763
.LBB0_761:                              ;   in Loop: Header=BB0_734 Depth=2
                                        ; implicit-def: $vgpr28_vgpr29
                                        ; implicit-def: $sgpr38
	s_branch .LBB0_764
.LBB0_762:                              ;   in Loop: Header=BB0_734 Depth=2
	v_pk_mov_b32 v[28:29], 0, 0
.LBB0_763:                              ;   in Loop: Header=BB0_734 Depth=2
	s_mov_b32 s38, 0
	s_cbranch_execnz .LBB0_765
.LBB0_764:                              ;   in Loop: Header=BB0_734 Depth=2
	global_load_dwordx2 v[28:29], v3, s[0:1]
	s_add_i32 s38, s33, -8
	s_add_u32 s0, s0, 8
	s_addc_u32 s1, s1, 0
.LBB0_765:                              ;   in Loop: Header=BB0_734 Depth=2
	s_cmp_gt_u32 s38, 7
	s_cbranch_scc1 .LBB0_769
; %bb.766:                              ;   in Loop: Header=BB0_734 Depth=2
	s_cmp_eq_u32 s38, 0
	s_cbranch_scc1 .LBB0_770
; %bb.767:                              ;   in Loop: Header=BB0_734 Depth=2
	s_mov_b64 s[34:35], 0
	v_pk_mov_b32 v[30:31], 0, 0
	s_mov_b64 s[36:37], 0
.LBB0_768:                              ;   Parent Loop BB0_141 Depth=1
                                        ;     Parent Loop BB0_734 Depth=2
                                        ; =>    This Inner Loop Header: Depth=3
	s_add_u32 s40, s0, s36
	s_addc_u32 s41, s1, s37
	global_load_ubyte v1, v3, s[40:41]
	s_add_u32 s36, s36, 1
	s_addc_u32 s37, s37, 0
	s_waitcnt vmcnt(0)
	v_and_b32_e32 v2, 0xffff, v1
	v_lshlrev_b64 v[6:7], s34, v[2:3]
	s_add_u32 s34, s34, 8
	s_addc_u32 s35, s35, 0
	v_or_b32_e32 v30, v6, v30
	s_cmp_lg_u32 s38, s36
	v_or_b32_e32 v31, v7, v31
	s_cbranch_scc1 .LBB0_768
	s_branch .LBB0_771
.LBB0_769:                              ;   in Loop: Header=BB0_734 Depth=2
                                        ; implicit-def: $sgpr33
	s_branch .LBB0_772
.LBB0_770:                              ;   in Loop: Header=BB0_734 Depth=2
	v_pk_mov_b32 v[30:31], 0, 0
.LBB0_771:                              ;   in Loop: Header=BB0_734 Depth=2
	s_mov_b32 s33, 0
	s_cbranch_execnz .LBB0_773
.LBB0_772:                              ;   in Loop: Header=BB0_734 Depth=2
	global_load_dwordx2 v[30:31], v3, s[0:1]
	s_add_i32 s33, s38, -8
	s_add_u32 s0, s0, 8
	s_addc_u32 s1, s1, 0
.LBB0_773:                              ;   in Loop: Header=BB0_734 Depth=2
	s_cmp_gt_u32 s33, 7
	s_cbranch_scc1 .LBB0_777
; %bb.774:                              ;   in Loop: Header=BB0_734 Depth=2
	s_cmp_eq_u32 s33, 0
	s_cbranch_scc1 .LBB0_778
; %bb.775:                              ;   in Loop: Header=BB0_734 Depth=2
	s_mov_b64 s[34:35], 0
	v_pk_mov_b32 v[32:33], 0, 0
	s_mov_b64 s[36:37], 0
.LBB0_776:                              ;   Parent Loop BB0_141 Depth=1
                                        ;     Parent Loop BB0_734 Depth=2
                                        ; =>    This Inner Loop Header: Depth=3
	s_add_u32 s38, s0, s36
	s_addc_u32 s39, s1, s37
	global_load_ubyte v1, v3, s[38:39]
	s_add_u32 s36, s36, 1
	s_addc_u32 s37, s37, 0
	s_waitcnt vmcnt(0)
	v_and_b32_e32 v2, 0xffff, v1
	v_lshlrev_b64 v[6:7], s34, v[2:3]
	s_add_u32 s34, s34, 8
	s_addc_u32 s35, s35, 0
	v_or_b32_e32 v32, v6, v32
	s_cmp_lg_u32 s33, s36
	v_or_b32_e32 v33, v7, v33
	s_cbranch_scc1 .LBB0_776
	s_branch .LBB0_779
.LBB0_777:                              ;   in Loop: Header=BB0_734 Depth=2
                                        ; implicit-def: $vgpr32_vgpr33
                                        ; implicit-def: $sgpr38
	s_branch .LBB0_780
.LBB0_778:                              ;   in Loop: Header=BB0_734 Depth=2
	v_pk_mov_b32 v[32:33], 0, 0
.LBB0_779:                              ;   in Loop: Header=BB0_734 Depth=2
	s_mov_b32 s38, 0
	s_cbranch_execnz .LBB0_781
.LBB0_780:                              ;   in Loop: Header=BB0_734 Depth=2
	global_load_dwordx2 v[32:33], v3, s[0:1]
	s_add_i32 s38, s33, -8
	s_add_u32 s0, s0, 8
	s_addc_u32 s1, s1, 0
.LBB0_781:                              ;   in Loop: Header=BB0_734 Depth=2
	s_cmp_gt_u32 s38, 7
	s_cbranch_scc1 .LBB0_785
; %bb.782:                              ;   in Loop: Header=BB0_734 Depth=2
	s_cmp_eq_u32 s38, 0
	s_cbranch_scc1 .LBB0_786
; %bb.783:                              ;   in Loop: Header=BB0_734 Depth=2
	s_mov_b64 s[34:35], 0
	v_pk_mov_b32 v[34:35], 0, 0
	s_mov_b64 s[36:37], s[0:1]
.LBB0_784:                              ;   Parent Loop BB0_141 Depth=1
                                        ;     Parent Loop BB0_734 Depth=2
                                        ; =>    This Inner Loop Header: Depth=3
	global_load_ubyte v1, v3, s[36:37]
	s_add_i32 s38, s38, -1
	s_waitcnt vmcnt(0)
	v_and_b32_e32 v2, 0xffff, v1
	v_lshlrev_b64 v[6:7], s34, v[2:3]
	s_add_u32 s34, s34, 8
	s_addc_u32 s35, s35, 0
	s_add_u32 s36, s36, 1
	s_addc_u32 s37, s37, 0
	v_or_b32_e32 v34, v6, v34
	s_cmp_lg_u32 s38, 0
	v_or_b32_e32 v35, v7, v35
	s_cbranch_scc1 .LBB0_784
	s_branch .LBB0_787
.LBB0_785:                              ;   in Loop: Header=BB0_734 Depth=2
	s_branch .LBB0_788
.LBB0_786:                              ;   in Loop: Header=BB0_734 Depth=2
	v_pk_mov_b32 v[34:35], 0, 0
.LBB0_787:                              ;   in Loop: Header=BB0_734 Depth=2
	s_cbranch_execnz .LBB0_789
.LBB0_788:                              ;   in Loop: Header=BB0_734 Depth=2
	global_load_dwordx2 v[34:35], v3, s[0:1]
.LBB0_789:                              ;   in Loop: Header=BB0_734 Depth=2
	v_readfirstlane_b32 s0, v42
	v_cmp_eq_u32_e64 s[0:1], s0, v42
	v_pk_mov_b32 v[6:7], 0, 0
	s_and_saveexec_b64 s[34:35], s[0:1]
	s_cbranch_execz .LBB0_795
; %bb.790:                              ;   in Loop: Header=BB0_734 Depth=2
	global_load_dwordx2 v[38:39], v3, s[2:3] offset:24 glc
	s_waitcnt vmcnt(0)
	buffer_invl2
	buffer_wbinvl1_vol
	global_load_dwordx2 v[6:7], v3, s[2:3] offset:40
	global_load_dwordx2 v[36:37], v3, s[2:3]
	s_waitcnt vmcnt(1)
	v_and_b32_e32 v1, v6, v38
	v_and_b32_e32 v2, v7, v39
	v_mul_lo_u32 v2, v2, 24
	v_mul_hi_u32 v5, v1, 24
	v_mul_lo_u32 v1, v1, 24
	v_add_u32_e32 v2, v5, v2
	s_waitcnt vmcnt(0)
	v_add_co_u32_e32 v6, vcc, v36, v1
	v_addc_co_u32_e32 v7, vcc, v37, v2, vcc
	global_load_dwordx2 v[36:37], v[6:7], off glc
	s_waitcnt vmcnt(0)
	global_atomic_cmpswap_x2 v[6:7], v3, v[36:39], s[2:3] offset:24 glc
	s_waitcnt vmcnt(0)
	buffer_invl2
	buffer_wbinvl1_vol
	v_cmp_ne_u64_e32 vcc, v[6:7], v[38:39]
	s_and_saveexec_b64 s[36:37], vcc
	s_cbranch_execz .LBB0_794
; %bb.791:                              ;   in Loop: Header=BB0_734 Depth=2
	s_mov_b64 s[38:39], 0
.LBB0_792:                              ;   Parent Loop BB0_141 Depth=1
                                        ;     Parent Loop BB0_734 Depth=2
                                        ; =>    This Inner Loop Header: Depth=3
	s_sleep 1
	global_load_dwordx2 v[36:37], v3, s[2:3] offset:40
	global_load_dwordx2 v[40:41], v3, s[2:3]
	v_pk_mov_b32 v[38:39], v[6:7], v[6:7] op_sel:[0,1]
	s_waitcnt vmcnt(1)
	v_and_b32_e32 v2, v36, v38
	s_waitcnt vmcnt(0)
	v_mad_u64_u32 v[6:7], s[40:41], v2, 24, v[40:41]
	v_and_b32_e32 v1, v37, v39
	v_mov_b32_e32 v2, v7
	v_mad_u64_u32 v[36:37], s[40:41], v1, 24, v[2:3]
	v_mov_b32_e32 v7, v36
	global_load_dwordx2 v[36:37], v[6:7], off glc
	s_waitcnt vmcnt(0)
	global_atomic_cmpswap_x2 v[6:7], v3, v[36:39], s[2:3] offset:24 glc
	s_waitcnt vmcnt(0)
	buffer_invl2
	buffer_wbinvl1_vol
	v_cmp_eq_u64_e32 vcc, v[6:7], v[38:39]
	s_or_b64 s[38:39], vcc, s[38:39]
	s_andn2_b64 exec, exec, s[38:39]
	s_cbranch_execnz .LBB0_792
; %bb.793:                              ;   in Loop: Header=BB0_734 Depth=2
	s_or_b64 exec, exec, s[38:39]
.LBB0_794:                              ;   in Loop: Header=BB0_734 Depth=2
	s_or_b64 exec, exec, s[36:37]
.LBB0_795:                              ;   in Loop: Header=BB0_734 Depth=2
	s_or_b64 exec, exec, s[34:35]
	global_load_dwordx2 v[40:41], v3, s[2:3] offset:40
	global_load_dwordx4 v[36:39], v3, s[2:3]
	v_readfirstlane_b32 s34, v6
	v_readfirstlane_b32 s35, v7
	s_mov_b64 s[36:37], exec
	s_waitcnt vmcnt(1)
	v_readfirstlane_b32 s38, v40
	v_readfirstlane_b32 s39, v41
	s_and_b64 s[38:39], s[34:35], s[38:39]
	s_mul_i32 s33, s39, 24
	s_mul_hi_u32 s40, s38, 24
	s_mul_i32 s41, s38, 24
	s_add_i32 s33, s40, s33
	v_mov_b32_e32 v1, s33
	s_waitcnt vmcnt(0)
	v_add_co_u32_e32 v40, vcc, s41, v36
	v_addc_co_u32_e32 v41, vcc, v37, v1, vcc
	s_and_saveexec_b64 s[40:41], s[0:1]
	s_cbranch_execz .LBB0_797
; %bb.796:                              ;   in Loop: Header=BB0_734 Depth=2
	v_pk_mov_b32 v[6:7], s[36:37], s[36:37] op_sel:[0,1]
	global_store_dwordx4 v[40:41], v[6:9], off offset:8
.LBB0_797:                              ;   in Loop: Header=BB0_734 Depth=2
	s_or_b64 exec, exec, s[40:41]
	s_lshl_b64 s[36:37], s[38:39], 12
	v_mov_b32_e32 v1, s37
	v_add_co_u32_e32 v6, vcc, s36, v38
	v_addc_co_u32_e32 v1, vcc, v39, v1, vcc
	v_or_b32_e32 v2, 0, v21
	v_or_b32_e32 v5, v20, v0
	v_cmp_gt_u64_e64 vcc, s[28:29], 56
	s_lshl_b32 s33, s30, 2
	v_cndmask_b32_e32 v21, v2, v21, vcc
	v_cndmask_b32_e32 v2, v5, v20, vcc
	s_add_i32 s33, s33, 28
	s_and_b32 s33, s33, 0x1e0
	v_and_b32_e32 v2, 0xffffff1f, v2
	v_or_b32_e32 v20, s33, v2
	v_readfirstlane_b32 s36, v6
	v_readfirstlane_b32 s37, v1
	s_nop 4
	global_store_dwordx4 v43, v[20:23], s[36:37]
	global_store_dwordx4 v43, v[24:27], s[36:37] offset:16
	global_store_dwordx4 v43, v[28:31], s[36:37] offset:32
	;; [unrolled: 1-line block ×3, first 2 shown]
	s_and_saveexec_b64 s[36:37], s[0:1]
	s_cbranch_execz .LBB0_805
; %bb.798:                              ;   in Loop: Header=BB0_734 Depth=2
	global_load_dwordx2 v[28:29], v3, s[2:3] offset:32 glc
	global_load_dwordx2 v[20:21], v3, s[2:3] offset:40
	v_mov_b32_e32 v26, s34
	v_mov_b32_e32 v27, s35
	s_waitcnt vmcnt(0)
	v_readfirstlane_b32 s38, v20
	v_readfirstlane_b32 s39, v21
	s_and_b64 s[38:39], s[38:39], s[34:35]
	s_mul_i32 s33, s39, 24
	s_mul_hi_u32 s39, s38, 24
	s_mul_i32 s38, s38, 24
	s_add_i32 s33, s39, s33
	v_mov_b32_e32 v2, s33
	v_add_co_u32_e32 v24, vcc, s38, v36
	v_addc_co_u32_e32 v25, vcc, v37, v2, vcc
	global_store_dwordx2 v[24:25], v[28:29], off
	buffer_wbl2
	s_waitcnt vmcnt(0)
	global_atomic_cmpswap_x2 v[22:23], v3, v[26:29], s[2:3] offset:32 glc
	s_waitcnt vmcnt(0)
	v_cmp_ne_u64_e32 vcc, v[22:23], v[28:29]
	s_and_saveexec_b64 s[38:39], vcc
	s_cbranch_execz .LBB0_801
; %bb.799:                              ;   in Loop: Header=BB0_734 Depth=2
	s_mov_b64 s[40:41], 0
.LBB0_800:                              ;   Parent Loop BB0_141 Depth=1
                                        ;     Parent Loop BB0_734 Depth=2
                                        ; =>    This Inner Loop Header: Depth=3
	s_sleep 1
	global_store_dwordx2 v[24:25], v[22:23], off
	v_mov_b32_e32 v20, s34
	v_mov_b32_e32 v21, s35
	buffer_wbl2
	s_waitcnt vmcnt(0)
	global_atomic_cmpswap_x2 v[20:21], v3, v[20:23], s[2:3] offset:32 glc
	s_waitcnt vmcnt(0)
	v_cmp_eq_u64_e32 vcc, v[20:21], v[22:23]
	s_or_b64 s[40:41], vcc, s[40:41]
	v_pk_mov_b32 v[22:23], v[20:21], v[20:21] op_sel:[0,1]
	s_andn2_b64 exec, exec, s[40:41]
	s_cbranch_execnz .LBB0_800
.LBB0_801:                              ;   in Loop: Header=BB0_734 Depth=2
	s_or_b64 exec, exec, s[38:39]
	global_load_dwordx2 v[20:21], v3, s[2:3] offset:16
	s_mov_b64 s[40:41], exec
	v_mbcnt_lo_u32_b32 v2, s40, 0
	v_mbcnt_hi_u32_b32 v2, s41, v2
	v_cmp_eq_u32_e32 vcc, 0, v2
	s_and_saveexec_b64 s[38:39], vcc
	s_cbranch_execz .LBB0_803
; %bb.802:                              ;   in Loop: Header=BB0_734 Depth=2
	s_bcnt1_i32_b64 s33, s[40:41]
	v_mov_b32_e32 v2, s33
	buffer_wbl2
	s_waitcnt vmcnt(0)
	global_atomic_add_x2 v[20:21], v[2:3], off offset:8
.LBB0_803:                              ;   in Loop: Header=BB0_734 Depth=2
	s_or_b64 exec, exec, s[38:39]
	s_waitcnt vmcnt(0)
	global_load_dwordx2 v[22:23], v[20:21], off offset:16
	s_waitcnt vmcnt(0)
	v_cmp_eq_u64_e32 vcc, 0, v[22:23]
	s_cbranch_vccnz .LBB0_805
; %bb.804:                              ;   in Loop: Header=BB0_734 Depth=2
	global_load_dword v2, v[20:21], off offset:24
	buffer_wbl2
	s_waitcnt vmcnt(0)
	global_store_dwordx2 v[22:23], v[2:3], off
	v_and_b32_e32 v2, 0xffffff, v2
	v_readfirstlane_b32 m0, v2
	s_sendmsg sendmsg(MSG_INTERRUPT)
.LBB0_805:                              ;   in Loop: Header=BB0_734 Depth=2
	s_or_b64 exec, exec, s[36:37]
	v_add_co_u32_e32 v6, vcc, v6, v43
	v_addc_co_u32_e32 v7, vcc, 0, v1, vcc
	s_branch .LBB0_809
.LBB0_806:                              ;   in Loop: Header=BB0_809 Depth=3
	s_or_b64 exec, exec, s[36:37]
	v_readfirstlane_b32 s33, v1
	s_cmp_eq_u32 s33, 0
	s_cbranch_scc1 .LBB0_808
; %bb.807:                              ;   in Loop: Header=BB0_809 Depth=3
	s_sleep 1
	s_cbranch_execnz .LBB0_809
	s_branch .LBB0_811
.LBB0_808:                              ;   in Loop: Header=BB0_734 Depth=2
	s_branch .LBB0_811
.LBB0_809:                              ;   Parent Loop BB0_141 Depth=1
                                        ;     Parent Loop BB0_734 Depth=2
                                        ; =>    This Inner Loop Header: Depth=3
	v_mov_b32_e32 v1, 1
	s_and_saveexec_b64 s[36:37], s[0:1]
	s_cbranch_execz .LBB0_806
; %bb.810:                              ;   in Loop: Header=BB0_809 Depth=3
	global_load_dword v1, v[40:41], off offset:20 glc
	s_waitcnt vmcnt(0)
	buffer_invl2
	buffer_wbinvl1_vol
	v_and_b32_e32 v1, 1, v1
	s_branch .LBB0_806
.LBB0_811:                              ;   in Loop: Header=BB0_734 Depth=2
	global_load_dwordx4 v[20:23], v[6:7], off
	s_and_saveexec_b64 s[36:37], s[0:1]
	s_cbranch_execz .LBB0_733
; %bb.812:                              ;   in Loop: Header=BB0_734 Depth=2
	global_load_dwordx2 v[6:7], v3, s[2:3] offset:40
	global_load_dwordx2 v[26:27], v3, s[2:3] offset:24 glc
	global_load_dwordx2 v[28:29], v3, s[2:3]
	v_mov_b32_e32 v1, s35
	s_waitcnt vmcnt(2)
	v_add_co_u32_e32 v2, vcc, 1, v6
	v_addc_co_u32_e32 v5, vcc, 0, v7, vcc
	v_add_co_u32_e32 v22, vcc, s34, v2
	v_addc_co_u32_e32 v23, vcc, v5, v1, vcc
	v_cmp_eq_u64_e32 vcc, 0, v[22:23]
	v_cndmask_b32_e32 v23, v23, v5, vcc
	v_cndmask_b32_e32 v22, v22, v2, vcc
	v_and_b32_e32 v1, v23, v7
	v_and_b32_e32 v2, v22, v6
	v_mul_lo_u32 v1, v1, 24
	v_mul_hi_u32 v5, v2, 24
	v_mul_lo_u32 v2, v2, 24
	v_add_u32_e32 v1, v5, v1
	s_waitcnt vmcnt(0)
	v_add_co_u32_e32 v6, vcc, v28, v2
	v_addc_co_u32_e32 v7, vcc, v29, v1, vcc
	v_mov_b32_e32 v24, v26
	global_store_dwordx2 v[6:7], v[26:27], off
	v_mov_b32_e32 v25, v27
	buffer_wbl2
	s_waitcnt vmcnt(0)
	global_atomic_cmpswap_x2 v[24:25], v3, v[22:25], s[2:3] offset:24 glc
	s_waitcnt vmcnt(0)
	v_cmp_ne_u64_e32 vcc, v[24:25], v[26:27]
	s_and_b64 exec, exec, vcc
	s_cbranch_execz .LBB0_733
; %bb.813:                              ;   in Loop: Header=BB0_734 Depth=2
	s_mov_b64 s[0:1], 0
.LBB0_814:                              ;   Parent Loop BB0_141 Depth=1
                                        ;     Parent Loop BB0_734 Depth=2
                                        ; =>    This Inner Loop Header: Depth=3
	s_sleep 1
	global_store_dwordx2 v[6:7], v[24:25], off
	buffer_wbl2
	s_waitcnt vmcnt(0)
	global_atomic_cmpswap_x2 v[26:27], v3, v[22:25], s[2:3] offset:24 glc
	s_waitcnt vmcnt(0)
	v_cmp_eq_u64_e32 vcc, v[26:27], v[24:25]
	s_or_b64 s[0:1], vcc, s[0:1]
	v_pk_mov_b32 v[24:25], v[26:27], v[26:27] op_sel:[0,1]
	s_andn2_b64 exec, exec, s[0:1]
	s_cbranch_execnz .LBB0_814
	s_branch .LBB0_733
.LBB0_815:                              ;   in Loop: Header=BB0_141 Depth=1
	s_branch .LBB0_844
.LBB0_816:                              ;   in Loop: Header=BB0_141 Depth=1
                                        ; implicit-def: $vgpr20_vgpr21
	s_cbranch_execz .LBB0_844
; %bb.817:                              ;   in Loop: Header=BB0_141 Depth=1
	v_readfirstlane_b32 s0, v42
	v_cmp_eq_u32_e64 s[0:1], s0, v42
	s_waitcnt vmcnt(0)
	v_pk_mov_b32 v[0:1], 0, 0
	s_and_saveexec_b64 s[26:27], s[0:1]
	s_cbranch_execz .LBB0_823
; %bb.818:                              ;   in Loop: Header=BB0_141 Depth=1
	global_load_dwordx2 v[22:23], v3, s[2:3] offset:24 glc
	s_waitcnt vmcnt(0)
	buffer_invl2
	buffer_wbinvl1_vol
	global_load_dwordx2 v[0:1], v3, s[2:3] offset:40
	global_load_dwordx2 v[6:7], v3, s[2:3]
	s_waitcnt vmcnt(1)
	v_and_b32_e32 v0, v0, v22
	v_and_b32_e32 v1, v1, v23
	v_mul_lo_u32 v1, v1, 24
	v_mul_hi_u32 v2, v0, 24
	v_mul_lo_u32 v0, v0, 24
	v_add_u32_e32 v1, v2, v1
	s_waitcnt vmcnt(0)
	v_add_co_u32_e32 v0, vcc, v6, v0
	v_addc_co_u32_e32 v1, vcc, v7, v1, vcc
	global_load_dwordx2 v[20:21], v[0:1], off glc
	s_waitcnt vmcnt(0)
	global_atomic_cmpswap_x2 v[0:1], v3, v[20:23], s[2:3] offset:24 glc
	s_waitcnt vmcnt(0)
	buffer_invl2
	buffer_wbinvl1_vol
	v_cmp_ne_u64_e32 vcc, v[0:1], v[22:23]
	s_and_saveexec_b64 s[28:29], vcc
	s_cbranch_execz .LBB0_822
; %bb.819:                              ;   in Loop: Header=BB0_141 Depth=1
	s_mov_b64 s[30:31], 0
.LBB0_820:                              ;   Parent Loop BB0_141 Depth=1
                                        ; =>  This Inner Loop Header: Depth=2
	s_sleep 1
	global_load_dwordx2 v[6:7], v3, s[2:3] offset:40
	global_load_dwordx2 v[20:21], v3, s[2:3]
	v_pk_mov_b32 v[22:23], v[0:1], v[0:1] op_sel:[0,1]
	s_waitcnt vmcnt(1)
	v_and_b32_e32 v0, v6, v22
	s_waitcnt vmcnt(0)
	v_mad_u64_u32 v[0:1], s[34:35], v0, 24, v[20:21]
	v_and_b32_e32 v5, v7, v23
	v_mov_b32_e32 v2, v1
	v_mad_u64_u32 v[6:7], s[34:35], v5, 24, v[2:3]
	v_mov_b32_e32 v1, v6
	global_load_dwordx2 v[20:21], v[0:1], off glc
	s_waitcnt vmcnt(0)
	global_atomic_cmpswap_x2 v[0:1], v3, v[20:23], s[2:3] offset:24 glc
	s_waitcnt vmcnt(0)
	buffer_invl2
	buffer_wbinvl1_vol
	v_cmp_eq_u64_e32 vcc, v[0:1], v[22:23]
	s_or_b64 s[30:31], vcc, s[30:31]
	s_andn2_b64 exec, exec, s[30:31]
	s_cbranch_execnz .LBB0_820
; %bb.821:                              ;   in Loop: Header=BB0_141 Depth=1
	s_or_b64 exec, exec, s[30:31]
.LBB0_822:                              ;   in Loop: Header=BB0_141 Depth=1
	s_or_b64 exec, exec, s[28:29]
.LBB0_823:                              ;   in Loop: Header=BB0_141 Depth=1
	s_or_b64 exec, exec, s[26:27]
	global_load_dwordx2 v[6:7], v3, s[2:3] offset:40
	global_load_dwordx4 v[22:25], v3, s[2:3]
	v_readfirstlane_b32 s26, v0
	v_readfirstlane_b32 s27, v1
	s_mov_b64 s[28:29], exec
	s_waitcnt vmcnt(1)
	v_readfirstlane_b32 s30, v6
	v_readfirstlane_b32 s31, v7
	s_and_b64 s[30:31], s[26:27], s[30:31]
	s_mul_i32 s33, s31, 24
	s_mul_hi_u32 s34, s30, 24
	s_mul_i32 s35, s30, 24
	s_add_i32 s33, s34, s33
	v_mov_b32_e32 v1, s33
	s_waitcnt vmcnt(0)
	v_add_co_u32_e32 v0, vcc, s35, v22
	v_addc_co_u32_e32 v1, vcc, v23, v1, vcc
	s_and_saveexec_b64 s[34:35], s[0:1]
	s_cbranch_execz .LBB0_825
; %bb.824:                              ;   in Loop: Header=BB0_141 Depth=1
	v_pk_mov_b32 v[6:7], s[28:29], s[28:29] op_sel:[0,1]
	global_store_dwordx4 v[0:1], v[6:9], off offset:8
.LBB0_825:                              ;   in Loop: Header=BB0_141 Depth=1
	s_or_b64 exec, exec, s[34:35]
	s_lshl_b64 s[28:29], s[30:31], 12
	v_mov_b32_e32 v2, s29
	v_add_co_u32_e32 v6, vcc, s28, v24
	v_addc_co_u32_e32 v5, vcc, v25, v2, vcc
	v_and_or_b32 v18, v18, s8, 32
	v_mov_b32_e32 v20, v3
	v_mov_b32_e32 v21, v3
	v_readfirstlane_b32 s28, v6
	v_readfirstlane_b32 s29, v5
	s_nop 4
	global_store_dwordx4 v43, v[18:21], s[28:29]
	s_nop 0
	v_pk_mov_b32 v[20:21], s[6:7], s[6:7] op_sel:[0,1]
	v_pk_mov_b32 v[18:19], s[4:5], s[4:5] op_sel:[0,1]
	global_store_dwordx4 v43, v[18:21], s[28:29] offset:16
	global_store_dwordx4 v43, v[18:21], s[28:29] offset:32
	;; [unrolled: 1-line block ×3, first 2 shown]
	s_and_saveexec_b64 s[28:29], s[0:1]
	s_cbranch_execz .LBB0_833
; %bb.826:                              ;   in Loop: Header=BB0_141 Depth=1
	global_load_dwordx2 v[26:27], v3, s[2:3] offset:32 glc
	global_load_dwordx2 v[18:19], v3, s[2:3] offset:40
	v_mov_b32_e32 v24, s26
	v_mov_b32_e32 v25, s27
	s_waitcnt vmcnt(0)
	v_readfirstlane_b32 s30, v18
	v_readfirstlane_b32 s31, v19
	s_and_b64 s[30:31], s[30:31], s[26:27]
	s_mul_i32 s31, s31, 24
	s_mul_hi_u32 s33, s30, 24
	s_mul_i32 s30, s30, 24
	s_add_i32 s31, s33, s31
	v_mov_b32_e32 v2, s31
	v_add_co_u32_e32 v22, vcc, s30, v22
	v_addc_co_u32_e32 v23, vcc, v23, v2, vcc
	global_store_dwordx2 v[22:23], v[26:27], off
	buffer_wbl2
	s_waitcnt vmcnt(0)
	global_atomic_cmpswap_x2 v[20:21], v3, v[24:27], s[2:3] offset:32 glc
	s_waitcnt vmcnt(0)
	v_cmp_ne_u64_e32 vcc, v[20:21], v[26:27]
	s_and_saveexec_b64 s[30:31], vcc
	s_cbranch_execz .LBB0_829
; %bb.827:                              ;   in Loop: Header=BB0_141 Depth=1
	s_mov_b64 s[34:35], 0
.LBB0_828:                              ;   Parent Loop BB0_141 Depth=1
                                        ; =>  This Inner Loop Header: Depth=2
	s_sleep 1
	global_store_dwordx2 v[22:23], v[20:21], off
	v_mov_b32_e32 v18, s26
	v_mov_b32_e32 v19, s27
	buffer_wbl2
	s_waitcnt vmcnt(0)
	global_atomic_cmpswap_x2 v[18:19], v3, v[18:21], s[2:3] offset:32 glc
	s_waitcnt vmcnt(0)
	v_cmp_eq_u64_e32 vcc, v[18:19], v[20:21]
	s_or_b64 s[34:35], vcc, s[34:35]
	v_pk_mov_b32 v[20:21], v[18:19], v[18:19] op_sel:[0,1]
	s_andn2_b64 exec, exec, s[34:35]
	s_cbranch_execnz .LBB0_828
.LBB0_829:                              ;   in Loop: Header=BB0_141 Depth=1
	s_or_b64 exec, exec, s[30:31]
	global_load_dwordx2 v[18:19], v3, s[2:3] offset:16
	s_mov_b64 s[34:35], exec
	v_mbcnt_lo_u32_b32 v2, s34, 0
	v_mbcnt_hi_u32_b32 v2, s35, v2
	v_cmp_eq_u32_e32 vcc, 0, v2
	s_and_saveexec_b64 s[30:31], vcc
	s_cbranch_execz .LBB0_831
; %bb.830:                              ;   in Loop: Header=BB0_141 Depth=1
	s_bcnt1_i32_b64 s33, s[34:35]
	v_mov_b32_e32 v2, s33
	buffer_wbl2
	s_waitcnt vmcnt(0)
	global_atomic_add_x2 v[18:19], v[2:3], off offset:8
.LBB0_831:                              ;   in Loop: Header=BB0_141 Depth=1
	s_or_b64 exec, exec, s[30:31]
	s_waitcnt vmcnt(0)
	global_load_dwordx2 v[20:21], v[18:19], off offset:16
	s_waitcnt vmcnt(0)
	v_cmp_eq_u64_e32 vcc, 0, v[20:21]
	s_cbranch_vccnz .LBB0_833
; %bb.832:                              ;   in Loop: Header=BB0_141 Depth=1
	global_load_dword v2, v[18:19], off offset:24
	buffer_wbl2
	s_waitcnt vmcnt(0)
	global_store_dwordx2 v[20:21], v[2:3], off
	v_and_b32_e32 v2, 0xffffff, v2
	v_readfirstlane_b32 m0, v2
	s_sendmsg sendmsg(MSG_INTERRUPT)
.LBB0_833:                              ;   in Loop: Header=BB0_141 Depth=1
	s_or_b64 exec, exec, s[28:29]
	v_add_co_u32_e32 v6, vcc, v6, v43
	v_addc_co_u32_e32 v7, vcc, 0, v5, vcc
	s_branch .LBB0_837
.LBB0_834:                              ;   in Loop: Header=BB0_837 Depth=2
	s_or_b64 exec, exec, s[28:29]
	v_readfirstlane_b32 s28, v2
	s_cmp_eq_u32 s28, 0
	s_cbranch_scc1 .LBB0_836
; %bb.835:                              ;   in Loop: Header=BB0_837 Depth=2
	s_sleep 1
	s_cbranch_execnz .LBB0_837
	s_branch .LBB0_839
.LBB0_836:                              ;   in Loop: Header=BB0_141 Depth=1
	s_branch .LBB0_839
.LBB0_837:                              ;   Parent Loop BB0_141 Depth=1
                                        ; =>  This Inner Loop Header: Depth=2
	v_mov_b32_e32 v2, 1
	s_and_saveexec_b64 s[28:29], s[0:1]
	s_cbranch_execz .LBB0_834
; %bb.838:                              ;   in Loop: Header=BB0_837 Depth=2
	global_load_dword v2, v[0:1], off offset:20 glc
	s_waitcnt vmcnt(0)
	buffer_invl2
	buffer_wbinvl1_vol
	v_and_b32_e32 v2, 1, v2
	s_branch .LBB0_834
.LBB0_839:                              ;   in Loop: Header=BB0_141 Depth=1
	global_load_dwordx2 v[20:21], v[6:7], off
	s_and_saveexec_b64 s[28:29], s[0:1]
	s_cbranch_execz .LBB0_843
; %bb.840:                              ;   in Loop: Header=BB0_141 Depth=1
	global_load_dwordx2 v[0:1], v3, s[2:3] offset:40
	global_load_dwordx2 v[6:7], v3, s[2:3] offset:24 glc
	global_load_dwordx2 v[18:19], v3, s[2:3]
	v_mov_b32_e32 v2, s27
	s_waitcnt vmcnt(2)
	v_add_co_u32_e32 v5, vcc, 1, v0
	v_addc_co_u32_e32 v25, vcc, 0, v1, vcc
	v_add_co_u32_e32 v22, vcc, s26, v5
	v_addc_co_u32_e32 v23, vcc, v25, v2, vcc
	v_cmp_eq_u64_e32 vcc, 0, v[22:23]
	v_cndmask_b32_e32 v23, v23, v25, vcc
	v_cndmask_b32_e32 v22, v22, v5, vcc
	v_and_b32_e32 v1, v23, v1
	v_and_b32_e32 v0, v22, v0
	v_mul_lo_u32 v1, v1, 24
	v_mul_hi_u32 v2, v0, 24
	v_mul_lo_u32 v0, v0, 24
	v_add_u32_e32 v1, v2, v1
	s_waitcnt vmcnt(0)
	v_add_co_u32_e32 v0, vcc, v18, v0
	v_addc_co_u32_e32 v1, vcc, v19, v1, vcc
	v_mov_b32_e32 v24, v6
	global_store_dwordx2 v[0:1], v[6:7], off
	v_mov_b32_e32 v25, v7
	buffer_wbl2
	s_waitcnt vmcnt(0)
	global_atomic_cmpswap_x2 v[24:25], v3, v[22:25], s[2:3] offset:24 glc
	s_waitcnt vmcnt(0)
	v_cmp_ne_u64_e32 vcc, v[24:25], v[6:7]
	s_and_b64 exec, exec, vcc
	s_cbranch_execz .LBB0_843
; %bb.841:                              ;   in Loop: Header=BB0_141 Depth=1
	s_mov_b64 s[0:1], 0
.LBB0_842:                              ;   Parent Loop BB0_141 Depth=1
                                        ; =>  This Inner Loop Header: Depth=2
	s_sleep 1
	global_store_dwordx2 v[0:1], v[24:25], off
	buffer_wbl2
	s_waitcnt vmcnt(0)
	global_atomic_cmpswap_x2 v[6:7], v3, v[22:25], s[2:3] offset:24 glc
	s_waitcnt vmcnt(0)
	v_cmp_eq_u64_e32 vcc, v[6:7], v[24:25]
	s_or_b64 s[0:1], vcc, s[0:1]
	v_pk_mov_b32 v[24:25], v[6:7], v[6:7] op_sel:[0,1]
	s_andn2_b64 exec, exec, s[0:1]
	s_cbranch_execnz .LBB0_842
.LBB0_843:                              ;   in Loop: Header=BB0_141 Depth=1
	s_or_b64 exec, exec, s[28:29]
.LBB0_844:                              ;   in Loop: Header=BB0_141 Depth=1
	v_readfirstlane_b32 s0, v42
	v_cmp_eq_u32_e64 s[0:1], s0, v42
	s_waitcnt vmcnt(0)
	v_pk_mov_b32 v[0:1], 0, 0
	s_and_saveexec_b64 s[26:27], s[0:1]
	s_cbranch_execz .LBB0_850
; %bb.845:                              ;   in Loop: Header=BB0_141 Depth=1
	global_load_dwordx2 v[24:25], v3, s[2:3] offset:24 glc
	s_waitcnt vmcnt(0)
	buffer_invl2
	buffer_wbinvl1_vol
	global_load_dwordx2 v[0:1], v3, s[2:3] offset:40
	global_load_dwordx2 v[6:7], v3, s[2:3]
	s_waitcnt vmcnt(1)
	v_and_b32_e32 v0, v0, v24
	v_and_b32_e32 v1, v1, v25
	v_mul_lo_u32 v1, v1, 24
	v_mul_hi_u32 v2, v0, 24
	v_mul_lo_u32 v0, v0, 24
	v_add_u32_e32 v1, v2, v1
	s_waitcnt vmcnt(0)
	v_add_co_u32_e32 v0, vcc, v6, v0
	v_addc_co_u32_e32 v1, vcc, v7, v1, vcc
	global_load_dwordx2 v[22:23], v[0:1], off glc
	s_waitcnt vmcnt(0)
	global_atomic_cmpswap_x2 v[0:1], v3, v[22:25], s[2:3] offset:24 glc
	s_waitcnt vmcnt(0)
	buffer_invl2
	buffer_wbinvl1_vol
	v_cmp_ne_u64_e32 vcc, v[0:1], v[24:25]
	s_and_saveexec_b64 s[28:29], vcc
	s_cbranch_execz .LBB0_849
; %bb.846:                              ;   in Loop: Header=BB0_141 Depth=1
	s_mov_b64 s[30:31], 0
.LBB0_847:                              ;   Parent Loop BB0_141 Depth=1
                                        ; =>  This Inner Loop Header: Depth=2
	s_sleep 1
	global_load_dwordx2 v[6:7], v3, s[2:3] offset:40
	global_load_dwordx2 v[18:19], v3, s[2:3]
	v_pk_mov_b32 v[24:25], v[0:1], v[0:1] op_sel:[0,1]
	s_waitcnt vmcnt(1)
	v_and_b32_e32 v0, v6, v24
	s_waitcnt vmcnt(0)
	v_mad_u64_u32 v[0:1], s[34:35], v0, 24, v[18:19]
	v_and_b32_e32 v5, v7, v25
	v_mov_b32_e32 v2, v1
	v_mad_u64_u32 v[6:7], s[34:35], v5, 24, v[2:3]
	v_mov_b32_e32 v1, v6
	global_load_dwordx2 v[22:23], v[0:1], off glc
	s_waitcnt vmcnt(0)
	global_atomic_cmpswap_x2 v[0:1], v3, v[22:25], s[2:3] offset:24 glc
	s_waitcnt vmcnt(0)
	buffer_invl2
	buffer_wbinvl1_vol
	v_cmp_eq_u64_e32 vcc, v[0:1], v[24:25]
	s_or_b64 s[30:31], vcc, s[30:31]
	s_andn2_b64 exec, exec, s[30:31]
	s_cbranch_execnz .LBB0_847
; %bb.848:                              ;   in Loop: Header=BB0_141 Depth=1
	s_or_b64 exec, exec, s[30:31]
.LBB0_849:                              ;   in Loop: Header=BB0_141 Depth=1
	s_or_b64 exec, exec, s[28:29]
.LBB0_850:                              ;   in Loop: Header=BB0_141 Depth=1
	s_or_b64 exec, exec, s[26:27]
	global_load_dwordx2 v[6:7], v3, s[2:3] offset:40
	global_load_dwordx4 v[24:27], v3, s[2:3]
	v_readfirstlane_b32 s26, v0
	v_readfirstlane_b32 s27, v1
	s_mov_b64 s[28:29], exec
	s_waitcnt vmcnt(1)
	v_readfirstlane_b32 s30, v6
	v_readfirstlane_b32 s31, v7
	s_and_b64 s[30:31], s[26:27], s[30:31]
	s_mul_i32 s33, s31, 24
	s_mul_hi_u32 s34, s30, 24
	s_mul_i32 s35, s30, 24
	s_add_i32 s33, s34, s33
	v_mov_b32_e32 v1, s33
	s_waitcnt vmcnt(0)
	v_add_co_u32_e32 v0, vcc, s35, v24
	v_addc_co_u32_e32 v1, vcc, v25, v1, vcc
	s_and_saveexec_b64 s[34:35], s[0:1]
	s_cbranch_execz .LBB0_852
; %bb.851:                              ;   in Loop: Header=BB0_141 Depth=1
	v_pk_mov_b32 v[6:7], s[28:29], s[28:29] op_sel:[0,1]
	global_store_dwordx4 v[0:1], v[6:9], off offset:8
.LBB0_852:                              ;   in Loop: Header=BB0_141 Depth=1
	s_or_b64 exec, exec, s[34:35]
	s_lshl_b64 s[28:29], s[30:31], 12
	v_mov_b32_e32 v5, s29
	v_add_co_u32_e32 v2, vcc, s28, v26
	v_addc_co_u32_e32 v5, vcc, v27, v5, vcc
	s_ashr_i32 s19, s19, 1
	v_and_or_b32 v20, v20, s11, 34
	v_mov_b32_e32 v22, s19
	v_mov_b32_e32 v23, v3
	v_readfirstlane_b32 s28, v2
	v_readfirstlane_b32 s29, v5
	s_nop 4
	global_store_dwordx4 v43, v[20:23], s[28:29]
	s_nop 0
	v_pk_mov_b32 v[20:21], s[6:7], s[6:7] op_sel:[0,1]
	v_pk_mov_b32 v[18:19], s[4:5], s[4:5] op_sel:[0,1]
	global_store_dwordx4 v43, v[18:21], s[28:29] offset:16
	global_store_dwordx4 v43, v[18:21], s[28:29] offset:32
	global_store_dwordx4 v43, v[18:21], s[28:29] offset:48
	s_and_saveexec_b64 s[28:29], s[0:1]
	s_cbranch_execz .LBB0_860
; %bb.853:                              ;   in Loop: Header=BB0_141 Depth=1
	global_load_dwordx2 v[22:23], v3, s[2:3] offset:32 glc
	global_load_dwordx2 v[6:7], v3, s[2:3] offset:40
	v_mov_b32_e32 v20, s26
	v_mov_b32_e32 v21, s27
	s_waitcnt vmcnt(0)
	v_readfirstlane_b32 s30, v6
	v_readfirstlane_b32 s31, v7
	s_and_b64 s[30:31], s[30:31], s[26:27]
	s_mul_i32 s19, s31, 24
	s_mul_hi_u32 s31, s30, 24
	s_mul_i32 s30, s30, 24
	s_add_i32 s19, s31, s19
	v_mov_b32_e32 v2, s19
	v_add_co_u32_e32 v6, vcc, s30, v24
	v_addc_co_u32_e32 v7, vcc, v25, v2, vcc
	global_store_dwordx2 v[6:7], v[22:23], off
	buffer_wbl2
	s_waitcnt vmcnt(0)
	global_atomic_cmpswap_x2 v[20:21], v3, v[20:23], s[2:3] offset:32 glc
	s_waitcnt vmcnt(0)
	v_cmp_ne_u64_e32 vcc, v[20:21], v[22:23]
	s_and_saveexec_b64 s[30:31], vcc
	s_cbranch_execz .LBB0_856
; %bb.854:                              ;   in Loop: Header=BB0_141 Depth=1
	s_mov_b64 s[34:35], 0
.LBB0_855:                              ;   Parent Loop BB0_141 Depth=1
                                        ; =>  This Inner Loop Header: Depth=2
	s_sleep 1
	global_store_dwordx2 v[6:7], v[20:21], off
	v_mov_b32_e32 v18, s26
	v_mov_b32_e32 v19, s27
	buffer_wbl2
	s_waitcnt vmcnt(0)
	global_atomic_cmpswap_x2 v[18:19], v3, v[18:21], s[2:3] offset:32 glc
	s_waitcnt vmcnt(0)
	v_cmp_eq_u64_e32 vcc, v[18:19], v[20:21]
	s_or_b64 s[34:35], vcc, s[34:35]
	v_pk_mov_b32 v[20:21], v[18:19], v[18:19] op_sel:[0,1]
	s_andn2_b64 exec, exec, s[34:35]
	s_cbranch_execnz .LBB0_855
.LBB0_856:                              ;   in Loop: Header=BB0_141 Depth=1
	s_or_b64 exec, exec, s[30:31]
	global_load_dwordx2 v[6:7], v3, s[2:3] offset:16
	s_mov_b64 s[34:35], exec
	v_mbcnt_lo_u32_b32 v2, s34, 0
	v_mbcnt_hi_u32_b32 v2, s35, v2
	v_cmp_eq_u32_e32 vcc, 0, v2
	s_and_saveexec_b64 s[30:31], vcc
	s_cbranch_execz .LBB0_858
; %bb.857:                              ;   in Loop: Header=BB0_141 Depth=1
	s_bcnt1_i32_b64 s19, s[34:35]
	v_mov_b32_e32 v2, s19
	buffer_wbl2
	s_waitcnt vmcnt(0)
	global_atomic_add_x2 v[6:7], v[2:3], off offset:8
.LBB0_858:                              ;   in Loop: Header=BB0_141 Depth=1
	s_or_b64 exec, exec, s[30:31]
	s_waitcnt vmcnt(0)
	global_load_dwordx2 v[18:19], v[6:7], off offset:16
	s_waitcnt vmcnt(0)
	v_cmp_eq_u64_e32 vcc, 0, v[18:19]
	s_cbranch_vccnz .LBB0_860
; %bb.859:                              ;   in Loop: Header=BB0_141 Depth=1
	global_load_dword v2, v[6:7], off offset:24
	buffer_wbl2
	s_waitcnt vmcnt(0)
	global_store_dwordx2 v[18:19], v[2:3], off
	v_and_b32_e32 v2, 0xffffff, v2
	v_readfirstlane_b32 m0, v2
	s_sendmsg sendmsg(MSG_INTERRUPT)
.LBB0_860:                              ;   in Loop: Header=BB0_141 Depth=1
	s_or_b64 exec, exec, s[28:29]
	s_branch .LBB0_864
.LBB0_861:                              ;   in Loop: Header=BB0_864 Depth=2
	s_or_b64 exec, exec, s[28:29]
	v_readfirstlane_b32 s19, v2
	s_cmp_eq_u32 s19, 0
	s_cbranch_scc1 .LBB0_863
; %bb.862:                              ;   in Loop: Header=BB0_864 Depth=2
	s_sleep 1
	s_cbranch_execnz .LBB0_864
	s_branch .LBB0_866
.LBB0_863:                              ;   in Loop: Header=BB0_141 Depth=1
	s_branch .LBB0_866
.LBB0_864:                              ;   Parent Loop BB0_141 Depth=1
                                        ; =>  This Inner Loop Header: Depth=2
	v_mov_b32_e32 v2, 1
	s_and_saveexec_b64 s[28:29], s[0:1]
	s_cbranch_execz .LBB0_861
; %bb.865:                              ;   in Loop: Header=BB0_864 Depth=2
	global_load_dword v2, v[0:1], off offset:20 glc
	s_waitcnt vmcnt(0)
	buffer_invl2
	buffer_wbinvl1_vol
	v_and_b32_e32 v2, 1, v2
	s_branch .LBB0_861
.LBB0_866:                              ;   in Loop: Header=BB0_141 Depth=1
	s_and_saveexec_b64 s[28:29], s[0:1]
	s_cbranch_execz .LBB0_140
; %bb.867:                              ;   in Loop: Header=BB0_141 Depth=1
	global_load_dwordx2 v[0:1], v3, s[2:3] offset:40
	global_load_dwordx2 v[6:7], v3, s[2:3] offset:24 glc
	global_load_dwordx2 v[22:23], v3, s[2:3]
	v_mov_b32_e32 v2, s27
	s_waitcnt vmcnt(2)
	v_add_co_u32_e32 v5, vcc, 1, v0
	v_addc_co_u32_e32 v21, vcc, 0, v1, vcc
	v_add_co_u32_e32 v18, vcc, s26, v5
	v_addc_co_u32_e32 v19, vcc, v21, v2, vcc
	v_cmp_eq_u64_e32 vcc, 0, v[18:19]
	v_cndmask_b32_e32 v19, v19, v21, vcc
	v_cndmask_b32_e32 v18, v18, v5, vcc
	v_and_b32_e32 v1, v19, v1
	v_and_b32_e32 v0, v18, v0
	v_mul_lo_u32 v1, v1, 24
	v_mul_hi_u32 v2, v0, 24
	v_mul_lo_u32 v0, v0, 24
	v_add_u32_e32 v1, v2, v1
	s_waitcnt vmcnt(0)
	v_add_co_u32_e32 v0, vcc, v22, v0
	v_addc_co_u32_e32 v1, vcc, v23, v1, vcc
	v_mov_b32_e32 v20, v6
	global_store_dwordx2 v[0:1], v[6:7], off
	v_mov_b32_e32 v21, v7
	buffer_wbl2
	s_waitcnt vmcnt(0)
	global_atomic_cmpswap_x2 v[20:21], v3, v[18:21], s[2:3] offset:24 glc
	s_waitcnt vmcnt(0)
	v_cmp_ne_u64_e32 vcc, v[20:21], v[6:7]
	s_and_b64 exec, exec, vcc
	s_cbranch_execz .LBB0_140
; %bb.868:                              ;   in Loop: Header=BB0_141 Depth=1
	s_mov_b64 s[0:1], 0
.LBB0_869:                              ;   Parent Loop BB0_141 Depth=1
                                        ; =>  This Inner Loop Header: Depth=2
	s_sleep 1
	global_store_dwordx2 v[0:1], v[20:21], off
	buffer_wbl2
	s_waitcnt vmcnt(0)
	global_atomic_cmpswap_x2 v[6:7], v3, v[18:21], s[2:3] offset:24 glc
	s_waitcnt vmcnt(0)
	v_cmp_eq_u64_e32 vcc, v[6:7], v[20:21]
	s_or_b64 s[0:1], vcc, s[0:1]
	v_pk_mov_b32 v[20:21], v[6:7], v[6:7] op_sel:[0,1]
	s_andn2_b64 exec, exec, s[0:1]
	s_cbranch_execnz .LBB0_869
	s_branch .LBB0_140
.LBB0_870:
	s_cmp_lt_i32 s9, 1
	s_cbranch_scc1 .LBB0_1155
; %bb.871:
	s_mov_b32 s11, 0
	s_getpc_b64 s[0:1]
	s_add_u32 s0, s0, .str.5@rel32@lo+4
	s_addc_u32 s1, s1, .str.5@rel32@hi+12
	s_mov_b32 s6, s11
	s_mov_b32 s7, s11
	s_cmp_lg_u64 s[0:1], 0
	v_mov_b32_e32 v3, 0
	s_mov_b32 s4, s11
	s_mov_b32 s5, s11
	v_pk_mov_b32 v[14:15], s[6:7], s[6:7] op_sel:[0,1]
	s_cselect_b64 s[12:13], -1, 0
	v_mov_b32_e32 v4, 33
	s_movk_i32 s8, 0xff1f
	s_movk_i32 s30, 0xff1d
	v_mov_b32_e32 v10, 2
	v_mov_b32_e32 v11, 1
	;; [unrolled: 1-line block ×3, first 2 shown]
	s_waitcnt vmcnt(0)
	v_mov_b32_e32 v6, v3
	v_mov_b32_e32 v7, v3
	v_pk_mov_b32 v[12:13], s[4:5], s[4:5] op_sel:[0,1]
	s_mov_b32 s10, s11
	s_branch .LBB0_873
.LBB0_872:                              ;   in Loop: Header=BB0_873 Depth=1
	s_or_b64 exec, exec, s[18:19]
	s_add_i32 s10, s10, 1
	s_cmp_lg_u32 s10, s9
	s_cbranch_scc0 .LBB0_1155
.LBB0_873:                              ; =>This Loop Header: Depth=1
                                        ;     Child Loop BB0_876 Depth 2
                                        ;     Child Loop BB0_884 Depth 2
	;; [unrolled: 1-line block ×9, first 2 shown]
                                        ;       Child Loop BB0_905 Depth 3
                                        ;       Child Loop BB0_912 Depth 3
	;; [unrolled: 1-line block ×11, first 2 shown]
                                        ;     Child Loop BB0_1014 Depth 2
                                        ;     Child Loop BB0_1105 Depth 2
	;; [unrolled: 1-line block ×6, first 2 shown]
                                        ;       Child Loop BB0_1022 Depth 3
                                        ;       Child Loop BB0_1029 Depth 3
	;; [unrolled: 1-line block ×11, first 2 shown]
                                        ;     Child Loop BB0_1132 Depth 2
                                        ;     Child Loop BB0_1140 Depth 2
	;; [unrolled: 1-line block ×4, first 2 shown]
	s_lshl_b64 s[0:1], s[10:11], 2
	s_add_u32 s0, s16, s0
	s_addc_u32 s1, s17, s1
	global_load_dword v0, v3, s[0:1]
	v_readfirstlane_b32 s0, v42
	v_cmp_eq_u32_e64 s[0:1], s0, v42
	s_waitcnt vmcnt(0)
	v_readfirstlane_b32 s31, v0
	v_pk_mov_b32 v[0:1], 0, 0
	s_and_saveexec_b64 s[14:15], s[0:1]
	s_cbranch_execz .LBB0_879
; %bb.874:                              ;   in Loop: Header=BB0_873 Depth=1
	global_load_dwordx2 v[18:19], v3, s[2:3] offset:24 glc
	s_waitcnt vmcnt(0)
	buffer_invl2
	buffer_wbinvl1_vol
	global_load_dwordx2 v[0:1], v3, s[2:3] offset:40
	global_load_dwordx2 v[8:9], v3, s[2:3]
	s_waitcnt vmcnt(1)
	v_and_b32_e32 v0, v0, v18
	v_and_b32_e32 v1, v1, v19
	v_mul_lo_u32 v1, v1, 24
	v_mul_hi_u32 v2, v0, 24
	v_mul_lo_u32 v0, v0, 24
	v_add_u32_e32 v1, v2, v1
	s_waitcnt vmcnt(0)
	v_add_co_u32_e32 v0, vcc, v8, v0
	v_addc_co_u32_e32 v1, vcc, v9, v1, vcc
	global_load_dwordx2 v[16:17], v[0:1], off glc
	s_waitcnt vmcnt(0)
	global_atomic_cmpswap_x2 v[0:1], v3, v[16:19], s[2:3] offset:24 glc
	s_waitcnt vmcnt(0)
	buffer_invl2
	buffer_wbinvl1_vol
	v_cmp_ne_u64_e32 vcc, v[0:1], v[18:19]
	s_and_saveexec_b64 s[18:19], vcc
	s_cbranch_execz .LBB0_878
; %bb.875:                              ;   in Loop: Header=BB0_873 Depth=1
	s_mov_b64 s[20:21], 0
.LBB0_876:                              ;   Parent Loop BB0_873 Depth=1
                                        ; =>  This Inner Loop Header: Depth=2
	s_sleep 1
	global_load_dwordx2 v[8:9], v3, s[2:3] offset:40
	global_load_dwordx2 v[16:17], v3, s[2:3]
	v_pk_mov_b32 v[18:19], v[0:1], v[0:1] op_sel:[0,1]
	s_waitcnt vmcnt(1)
	v_and_b32_e32 v0, v8, v18
	s_waitcnt vmcnt(0)
	v_mad_u64_u32 v[0:1], s[22:23], v0, 24, v[16:17]
	v_and_b32_e32 v9, v9, v19
	v_mov_b32_e32 v2, v1
	v_mad_u64_u32 v[8:9], s[22:23], v9, 24, v[2:3]
	v_mov_b32_e32 v1, v8
	global_load_dwordx2 v[16:17], v[0:1], off glc
	s_waitcnt vmcnt(0)
	global_atomic_cmpswap_x2 v[0:1], v3, v[16:19], s[2:3] offset:24 glc
	s_waitcnt vmcnt(0)
	buffer_invl2
	buffer_wbinvl1_vol
	v_cmp_eq_u64_e32 vcc, v[0:1], v[18:19]
	s_or_b64 s[20:21], vcc, s[20:21]
	s_andn2_b64 exec, exec, s[20:21]
	s_cbranch_execnz .LBB0_876
; %bb.877:                              ;   in Loop: Header=BB0_873 Depth=1
	s_or_b64 exec, exec, s[20:21]
.LBB0_878:                              ;   in Loop: Header=BB0_873 Depth=1
	s_or_b64 exec, exec, s[18:19]
.LBB0_879:                              ;   in Loop: Header=BB0_873 Depth=1
	s_or_b64 exec, exec, s[14:15]
	global_load_dwordx2 v[8:9], v3, s[2:3] offset:40
	global_load_dwordx4 v[16:19], v3, s[2:3]
	v_readfirstlane_b32 s14, v0
	v_readfirstlane_b32 s15, v1
	s_mov_b64 s[18:19], exec
	s_waitcnt vmcnt(1)
	v_readfirstlane_b32 s20, v8
	v_readfirstlane_b32 s21, v9
	s_and_b64 s[20:21], s[14:15], s[20:21]
	s_mul_i32 s22, s21, 24
	s_mul_hi_u32 s23, s20, 24
	s_mul_i32 s24, s20, 24
	s_add_i32 s22, s23, s22
	v_mov_b32_e32 v1, s22
	s_waitcnt vmcnt(0)
	v_add_co_u32_e32 v0, vcc, s24, v16
	v_addc_co_u32_e32 v1, vcc, v17, v1, vcc
	s_and_saveexec_b64 s[22:23], s[0:1]
	s_cbranch_execz .LBB0_881
; %bb.880:                              ;   in Loop: Header=BB0_873 Depth=1
	v_pk_mov_b32 v[8:9], s[18:19], s[18:19] op_sel:[0,1]
	global_store_dwordx4 v[0:1], v[8:11], off offset:8
.LBB0_881:                              ;   in Loop: Header=BB0_873 Depth=1
	s_or_b64 exec, exec, s[22:23]
	s_lshl_b64 s[18:19], s[20:21], 12
	v_mov_b32_e32 v2, s19
	v_add_co_u32_e32 v8, vcc, s18, v18
	v_addc_co_u32_e32 v9, vcc, v19, v2, vcc
	v_readfirstlane_b32 s18, v8
	v_readfirstlane_b32 s19, v9
	s_nop 4
	global_store_dwordx4 v43, v[4:7], s[18:19]
	global_store_dwordx4 v43, v[12:15], s[18:19] offset:16
	global_store_dwordx4 v43, v[12:15], s[18:19] offset:32
	;; [unrolled: 1-line block ×3, first 2 shown]
	s_and_saveexec_b64 s[18:19], s[0:1]
	s_cbranch_execz .LBB0_889
; %bb.882:                              ;   in Loop: Header=BB0_873 Depth=1
	global_load_dwordx2 v[24:25], v3, s[2:3] offset:32 glc
	global_load_dwordx2 v[18:19], v3, s[2:3] offset:40
	v_mov_b32_e32 v22, s14
	v_mov_b32_e32 v23, s15
	s_waitcnt vmcnt(0)
	v_readfirstlane_b32 s20, v18
	v_readfirstlane_b32 s21, v19
	s_and_b64 s[20:21], s[20:21], s[14:15]
	s_mul_i32 s21, s21, 24
	s_mul_hi_u32 s22, s20, 24
	s_mul_i32 s20, s20, 24
	s_add_i32 s21, s22, s21
	v_mov_b32_e32 v2, s21
	v_add_co_u32_e32 v20, vcc, s20, v16
	v_addc_co_u32_e32 v21, vcc, v17, v2, vcc
	global_store_dwordx2 v[20:21], v[24:25], off
	buffer_wbl2
	s_waitcnt vmcnt(0)
	global_atomic_cmpswap_x2 v[18:19], v3, v[22:25], s[2:3] offset:32 glc
	s_waitcnt vmcnt(0)
	v_cmp_ne_u64_e32 vcc, v[18:19], v[24:25]
	s_and_saveexec_b64 s[20:21], vcc
	s_cbranch_execz .LBB0_885
; %bb.883:                              ;   in Loop: Header=BB0_873 Depth=1
	s_mov_b64 s[22:23], 0
.LBB0_884:                              ;   Parent Loop BB0_873 Depth=1
                                        ; =>  This Inner Loop Header: Depth=2
	s_sleep 1
	global_store_dwordx2 v[20:21], v[18:19], off
	v_mov_b32_e32 v16, s14
	v_mov_b32_e32 v17, s15
	buffer_wbl2
	s_waitcnt vmcnt(0)
	global_atomic_cmpswap_x2 v[16:17], v3, v[16:19], s[2:3] offset:32 glc
	s_waitcnt vmcnt(0)
	v_cmp_eq_u64_e32 vcc, v[16:17], v[18:19]
	s_or_b64 s[22:23], vcc, s[22:23]
	v_pk_mov_b32 v[18:19], v[16:17], v[16:17] op_sel:[0,1]
	s_andn2_b64 exec, exec, s[22:23]
	s_cbranch_execnz .LBB0_884
.LBB0_885:                              ;   in Loop: Header=BB0_873 Depth=1
	s_or_b64 exec, exec, s[20:21]
	global_load_dwordx2 v[16:17], v3, s[2:3] offset:16
	s_mov_b64 s[22:23], exec
	v_mbcnt_lo_u32_b32 v2, s22, 0
	v_mbcnt_hi_u32_b32 v2, s23, v2
	v_cmp_eq_u32_e32 vcc, 0, v2
	s_and_saveexec_b64 s[20:21], vcc
	s_cbranch_execz .LBB0_887
; %bb.886:                              ;   in Loop: Header=BB0_873 Depth=1
	s_bcnt1_i32_b64 s22, s[22:23]
	v_mov_b32_e32 v2, s22
	buffer_wbl2
	s_waitcnt vmcnt(0)
	global_atomic_add_x2 v[16:17], v[2:3], off offset:8
.LBB0_887:                              ;   in Loop: Header=BB0_873 Depth=1
	s_or_b64 exec, exec, s[20:21]
	s_waitcnt vmcnt(0)
	global_load_dwordx2 v[18:19], v[16:17], off offset:16
	s_waitcnt vmcnt(0)
	v_cmp_eq_u64_e32 vcc, 0, v[18:19]
	s_cbranch_vccnz .LBB0_889
; %bb.888:                              ;   in Loop: Header=BB0_873 Depth=1
	global_load_dword v2, v[16:17], off offset:24
	buffer_wbl2
	s_waitcnt vmcnt(0)
	global_store_dwordx2 v[18:19], v[2:3], off
	v_and_b32_e32 v2, 0xffffff, v2
	v_readfirstlane_b32 m0, v2
	s_sendmsg sendmsg(MSG_INTERRUPT)
.LBB0_889:                              ;   in Loop: Header=BB0_873 Depth=1
	s_or_b64 exec, exec, s[18:19]
	v_add_co_u32_e32 v8, vcc, v8, v43
	v_addc_co_u32_e32 v9, vcc, 0, v9, vcc
	s_branch .LBB0_893
.LBB0_890:                              ;   in Loop: Header=BB0_893 Depth=2
	s_or_b64 exec, exec, s[18:19]
	v_readfirstlane_b32 s18, v2
	s_cmp_eq_u32 s18, 0
	s_cbranch_scc1 .LBB0_892
; %bb.891:                              ;   in Loop: Header=BB0_893 Depth=2
	s_sleep 1
	s_cbranch_execnz .LBB0_893
	s_branch .LBB0_895
.LBB0_892:                              ;   in Loop: Header=BB0_873 Depth=1
	s_branch .LBB0_895
.LBB0_893:                              ;   Parent Loop BB0_873 Depth=1
                                        ; =>  This Inner Loop Header: Depth=2
	v_mov_b32_e32 v2, 1
	s_and_saveexec_b64 s[18:19], s[0:1]
	s_cbranch_execz .LBB0_890
; %bb.894:                              ;   in Loop: Header=BB0_893 Depth=2
	global_load_dword v2, v[0:1], off offset:20 glc
	s_waitcnt vmcnt(0)
	buffer_invl2
	buffer_wbinvl1_vol
	v_and_b32_e32 v2, 1, v2
	s_branch .LBB0_890
.LBB0_895:                              ;   in Loop: Header=BB0_873 Depth=1
	global_load_dwordx2 v[0:1], v[8:9], off
	s_and_saveexec_b64 s[18:19], s[0:1]
	s_cbranch_execz .LBB0_899
; %bb.896:                              ;   in Loop: Header=BB0_873 Depth=1
	global_load_dwordx2 v[8:9], v3, s[2:3] offset:40
	global_load_dwordx2 v[20:21], v3, s[2:3] offset:24 glc
	global_load_dwordx2 v[22:23], v3, s[2:3]
	v_mov_b32_e32 v2, s15
	s_waitcnt vmcnt(2)
	v_add_co_u32_e32 v19, vcc, 1, v8
	v_addc_co_u32_e32 v24, vcc, 0, v9, vcc
	v_add_co_u32_e32 v16, vcc, s14, v19
	v_addc_co_u32_e32 v17, vcc, v24, v2, vcc
	v_cmp_eq_u64_e32 vcc, 0, v[16:17]
	v_cndmask_b32_e32 v17, v17, v24, vcc
	v_cndmask_b32_e32 v16, v16, v19, vcc
	v_and_b32_e32 v2, v17, v9
	v_and_b32_e32 v8, v16, v8
	v_mul_lo_u32 v2, v2, 24
	v_mul_hi_u32 v9, v8, 24
	v_mul_lo_u32 v8, v8, 24
	v_add_u32_e32 v2, v9, v2
	s_waitcnt vmcnt(0)
	v_add_co_u32_e32 v8, vcc, v22, v8
	v_addc_co_u32_e32 v9, vcc, v23, v2, vcc
	v_mov_b32_e32 v18, v20
	global_store_dwordx2 v[8:9], v[20:21], off
	v_mov_b32_e32 v19, v21
	buffer_wbl2
	s_waitcnt vmcnt(0)
	global_atomic_cmpswap_x2 v[18:19], v3, v[16:19], s[2:3] offset:24 glc
	s_waitcnt vmcnt(0)
	v_cmp_ne_u64_e32 vcc, v[18:19], v[20:21]
	s_and_b64 exec, exec, vcc
	s_cbranch_execz .LBB0_899
; %bb.897:                              ;   in Loop: Header=BB0_873 Depth=1
	s_mov_b64 s[0:1], 0
.LBB0_898:                              ;   Parent Loop BB0_873 Depth=1
                                        ; =>  This Inner Loop Header: Depth=2
	s_sleep 1
	global_store_dwordx2 v[8:9], v[18:19], off
	buffer_wbl2
	s_waitcnt vmcnt(0)
	global_atomic_cmpswap_x2 v[20:21], v3, v[16:19], s[2:3] offset:24 glc
	s_waitcnt vmcnt(0)
	v_cmp_eq_u64_e32 vcc, v[20:21], v[18:19]
	s_or_b64 s[0:1], vcc, s[0:1]
	v_pk_mov_b32 v[18:19], v[20:21], v[20:21] op_sel:[0,1]
	s_andn2_b64 exec, exec, s[0:1]
	s_cbranch_execnz .LBB0_898
.LBB0_899:                              ;   in Loop: Header=BB0_873 Depth=1
	s_or_b64 exec, exec, s[18:19]
	s_and_b64 vcc, exec, s[12:13]
	s_cbranch_vccz .LBB0_984
; %bb.900:                              ;   in Loop: Header=BB0_873 Depth=1
	s_waitcnt vmcnt(0)
	v_and_b32_e32 v36, 2, v0
	v_and_b32_e32 v16, -3, v0
	v_mov_b32_e32 v17, v1
	s_mov_b64 s[18:19], 6
	s_getpc_b64 s[14:15]
	s_add_u32 s14, s14, .str.5@rel32@lo+4
	s_addc_u32 s15, s15, .str.5@rel32@hi+12
	s_branch .LBB0_902
.LBB0_901:                              ;   in Loop: Header=BB0_902 Depth=2
	s_or_b64 exec, exec, s[24:25]
	s_sub_u32 s18, s18, s20
	s_subb_u32 s19, s19, s21
	s_add_u32 s14, s14, s20
	s_addc_u32 s15, s15, s21
	s_cmp_lg_u64 s[18:19], 0
	s_cbranch_scc0 .LBB0_983
.LBB0_902:                              ;   Parent Loop BB0_873 Depth=1
                                        ; =>  This Loop Header: Depth=2
                                        ;       Child Loop BB0_905 Depth 3
                                        ;       Child Loop BB0_912 Depth 3
	;; [unrolled: 1-line block ×11, first 2 shown]
	v_cmp_lt_u64_e64 s[0:1], s[18:19], 56
	s_and_b64 s[0:1], s[0:1], exec
	v_cmp_gt_u64_e64 s[0:1], s[18:19], 7
	s_cselect_b32 s21, s19, 0
	s_cselect_b32 s20, s18, 56
	s_and_b64 vcc, exec, s[0:1]
	s_cbranch_vccnz .LBB0_907
; %bb.903:                              ;   in Loop: Header=BB0_902 Depth=2
	s_mov_b64 s[0:1], 0
	s_cmp_eq_u64 s[18:19], 0
	s_waitcnt vmcnt(0)
	v_pk_mov_b32 v[18:19], 0, 0
	s_cbranch_scc1 .LBB0_906
; %bb.904:                              ;   in Loop: Header=BB0_902 Depth=2
	s_lshl_b64 s[22:23], s[20:21], 3
	s_mov_b64 s[24:25], 0
	v_pk_mov_b32 v[18:19], 0, 0
	s_mov_b64 s[26:27], s[14:15]
.LBB0_905:                              ;   Parent Loop BB0_873 Depth=1
                                        ;     Parent Loop BB0_902 Depth=2
                                        ; =>    This Inner Loop Header: Depth=3
	global_load_ubyte v2, v3, s[26:27]
	s_waitcnt vmcnt(0)
	v_and_b32_e32 v2, 0xffff, v2
	v_lshlrev_b64 v[8:9], s24, v[2:3]
	s_add_u32 s24, s24, 8
	s_addc_u32 s25, s25, 0
	s_add_u32 s26, s26, 1
	s_addc_u32 s27, s27, 0
	v_or_b32_e32 v18, v8, v18
	s_cmp_lg_u32 s22, s24
	v_or_b32_e32 v19, v9, v19
	s_cbranch_scc1 .LBB0_905
.LBB0_906:                              ;   in Loop: Header=BB0_902 Depth=2
	s_mov_b32 s26, 0
	s_andn2_b64 vcc, exec, s[0:1]
	s_mov_b64 s[0:1], s[14:15]
	s_cbranch_vccz .LBB0_908
	s_branch .LBB0_909
.LBB0_907:                              ;   in Loop: Header=BB0_902 Depth=2
                                        ; implicit-def: $vgpr18_vgpr19
                                        ; implicit-def: $sgpr26
	s_mov_b64 s[0:1], s[14:15]
.LBB0_908:                              ;   in Loop: Header=BB0_902 Depth=2
	global_load_dwordx2 v[18:19], v3, s[14:15]
	s_add_i32 s26, s20, -8
	s_add_u32 s0, s14, 8
	s_addc_u32 s1, s15, 0
.LBB0_909:                              ;   in Loop: Header=BB0_902 Depth=2
	s_cmp_gt_u32 s26, 7
	s_cbranch_scc1 .LBB0_913
; %bb.910:                              ;   in Loop: Header=BB0_902 Depth=2
	s_cmp_eq_u32 s26, 0
	s_cbranch_scc1 .LBB0_914
; %bb.911:                              ;   in Loop: Header=BB0_902 Depth=2
	s_mov_b64 s[22:23], 0
	v_pk_mov_b32 v[20:21], 0, 0
	s_mov_b64 s[24:25], 0
.LBB0_912:                              ;   Parent Loop BB0_873 Depth=1
                                        ;     Parent Loop BB0_902 Depth=2
                                        ; =>    This Inner Loop Header: Depth=3
	s_add_u32 s28, s0, s24
	s_addc_u32 s29, s1, s25
	global_load_ubyte v2, v3, s[28:29]
	s_add_u32 s24, s24, 1
	s_addc_u32 s25, s25, 0
	s_waitcnt vmcnt(0)
	v_and_b32_e32 v2, 0xffff, v2
	v_lshlrev_b64 v[8:9], s22, v[2:3]
	s_add_u32 s22, s22, 8
	s_addc_u32 s23, s23, 0
	v_or_b32_e32 v20, v8, v20
	s_cmp_lg_u32 s26, s24
	v_or_b32_e32 v21, v9, v21
	s_cbranch_scc1 .LBB0_912
	s_branch .LBB0_915
.LBB0_913:                              ;   in Loop: Header=BB0_902 Depth=2
                                        ; implicit-def: $vgpr20_vgpr21
                                        ; implicit-def: $sgpr27
	s_branch .LBB0_916
.LBB0_914:                              ;   in Loop: Header=BB0_902 Depth=2
	v_pk_mov_b32 v[20:21], 0, 0
.LBB0_915:                              ;   in Loop: Header=BB0_902 Depth=2
	s_mov_b32 s27, 0
	s_cbranch_execnz .LBB0_917
.LBB0_916:                              ;   in Loop: Header=BB0_902 Depth=2
	global_load_dwordx2 v[20:21], v3, s[0:1]
	s_add_i32 s27, s26, -8
	s_add_u32 s0, s0, 8
	s_addc_u32 s1, s1, 0
.LBB0_917:                              ;   in Loop: Header=BB0_902 Depth=2
	s_cmp_gt_u32 s27, 7
	s_cbranch_scc1 .LBB0_921
; %bb.918:                              ;   in Loop: Header=BB0_902 Depth=2
	s_cmp_eq_u32 s27, 0
	s_cbranch_scc1 .LBB0_922
; %bb.919:                              ;   in Loop: Header=BB0_902 Depth=2
	s_mov_b64 s[22:23], 0
	v_pk_mov_b32 v[22:23], 0, 0
	s_mov_b64 s[24:25], 0
.LBB0_920:                              ;   Parent Loop BB0_873 Depth=1
                                        ;     Parent Loop BB0_902 Depth=2
                                        ; =>    This Inner Loop Header: Depth=3
	s_add_u32 s28, s0, s24
	s_addc_u32 s29, s1, s25
	global_load_ubyte v2, v3, s[28:29]
	s_add_u32 s24, s24, 1
	s_addc_u32 s25, s25, 0
	s_waitcnt vmcnt(0)
	v_and_b32_e32 v2, 0xffff, v2
	v_lshlrev_b64 v[8:9], s22, v[2:3]
	s_add_u32 s22, s22, 8
	s_addc_u32 s23, s23, 0
	v_or_b32_e32 v22, v8, v22
	s_cmp_lg_u32 s27, s24
	v_or_b32_e32 v23, v9, v23
	s_cbranch_scc1 .LBB0_920
	s_branch .LBB0_923
.LBB0_921:                              ;   in Loop: Header=BB0_902 Depth=2
                                        ; implicit-def: $sgpr26
	s_branch .LBB0_924
.LBB0_922:                              ;   in Loop: Header=BB0_902 Depth=2
	v_pk_mov_b32 v[22:23], 0, 0
.LBB0_923:                              ;   in Loop: Header=BB0_902 Depth=2
	s_mov_b32 s26, 0
	s_cbranch_execnz .LBB0_925
.LBB0_924:                              ;   in Loop: Header=BB0_902 Depth=2
	global_load_dwordx2 v[22:23], v3, s[0:1]
	s_add_i32 s26, s27, -8
	s_add_u32 s0, s0, 8
	s_addc_u32 s1, s1, 0
.LBB0_925:                              ;   in Loop: Header=BB0_902 Depth=2
	s_cmp_gt_u32 s26, 7
	s_cbranch_scc1 .LBB0_929
; %bb.926:                              ;   in Loop: Header=BB0_902 Depth=2
	s_cmp_eq_u32 s26, 0
	s_cbranch_scc1 .LBB0_930
; %bb.927:                              ;   in Loop: Header=BB0_902 Depth=2
	s_mov_b64 s[22:23], 0
	v_pk_mov_b32 v[24:25], 0, 0
	s_mov_b64 s[24:25], 0
.LBB0_928:                              ;   Parent Loop BB0_873 Depth=1
                                        ;     Parent Loop BB0_902 Depth=2
                                        ; =>    This Inner Loop Header: Depth=3
	s_add_u32 s28, s0, s24
	s_addc_u32 s29, s1, s25
	global_load_ubyte v2, v3, s[28:29]
	s_add_u32 s24, s24, 1
	s_addc_u32 s25, s25, 0
	s_waitcnt vmcnt(0)
	v_and_b32_e32 v2, 0xffff, v2
	v_lshlrev_b64 v[8:9], s22, v[2:3]
	s_add_u32 s22, s22, 8
	s_addc_u32 s23, s23, 0
	v_or_b32_e32 v24, v8, v24
	s_cmp_lg_u32 s26, s24
	v_or_b32_e32 v25, v9, v25
	s_cbranch_scc1 .LBB0_928
	s_branch .LBB0_931
.LBB0_929:                              ;   in Loop: Header=BB0_902 Depth=2
                                        ; implicit-def: $vgpr24_vgpr25
                                        ; implicit-def: $sgpr27
	s_branch .LBB0_932
.LBB0_930:                              ;   in Loop: Header=BB0_902 Depth=2
	v_pk_mov_b32 v[24:25], 0, 0
.LBB0_931:                              ;   in Loop: Header=BB0_902 Depth=2
	s_mov_b32 s27, 0
	s_cbranch_execnz .LBB0_933
.LBB0_932:                              ;   in Loop: Header=BB0_902 Depth=2
	global_load_dwordx2 v[24:25], v3, s[0:1]
	s_add_i32 s27, s26, -8
	s_add_u32 s0, s0, 8
	s_addc_u32 s1, s1, 0
.LBB0_933:                              ;   in Loop: Header=BB0_902 Depth=2
	s_cmp_gt_u32 s27, 7
	s_cbranch_scc1 .LBB0_937
; %bb.934:                              ;   in Loop: Header=BB0_902 Depth=2
	s_cmp_eq_u32 s27, 0
	s_cbranch_scc1 .LBB0_938
; %bb.935:                              ;   in Loop: Header=BB0_902 Depth=2
	s_mov_b64 s[22:23], 0
	v_pk_mov_b32 v[26:27], 0, 0
	s_mov_b64 s[24:25], 0
.LBB0_936:                              ;   Parent Loop BB0_873 Depth=1
                                        ;     Parent Loop BB0_902 Depth=2
                                        ; =>    This Inner Loop Header: Depth=3
	s_add_u32 s28, s0, s24
	s_addc_u32 s29, s1, s25
	global_load_ubyte v2, v3, s[28:29]
	s_add_u32 s24, s24, 1
	s_addc_u32 s25, s25, 0
	s_waitcnt vmcnt(0)
	v_and_b32_e32 v2, 0xffff, v2
	v_lshlrev_b64 v[8:9], s22, v[2:3]
	s_add_u32 s22, s22, 8
	s_addc_u32 s23, s23, 0
	v_or_b32_e32 v26, v8, v26
	s_cmp_lg_u32 s27, s24
	v_or_b32_e32 v27, v9, v27
	s_cbranch_scc1 .LBB0_936
	s_branch .LBB0_939
.LBB0_937:                              ;   in Loop: Header=BB0_902 Depth=2
                                        ; implicit-def: $sgpr26
	s_branch .LBB0_940
.LBB0_938:                              ;   in Loop: Header=BB0_902 Depth=2
	v_pk_mov_b32 v[26:27], 0, 0
.LBB0_939:                              ;   in Loop: Header=BB0_902 Depth=2
	s_mov_b32 s26, 0
	s_cbranch_execnz .LBB0_941
.LBB0_940:                              ;   in Loop: Header=BB0_902 Depth=2
	global_load_dwordx2 v[26:27], v3, s[0:1]
	s_add_i32 s26, s27, -8
	s_add_u32 s0, s0, 8
	s_addc_u32 s1, s1, 0
.LBB0_941:                              ;   in Loop: Header=BB0_902 Depth=2
	s_cmp_gt_u32 s26, 7
	s_cbranch_scc1 .LBB0_945
; %bb.942:                              ;   in Loop: Header=BB0_902 Depth=2
	s_cmp_eq_u32 s26, 0
	s_cbranch_scc1 .LBB0_946
; %bb.943:                              ;   in Loop: Header=BB0_902 Depth=2
	s_mov_b64 s[22:23], 0
	v_pk_mov_b32 v[28:29], 0, 0
	s_mov_b64 s[24:25], 0
.LBB0_944:                              ;   Parent Loop BB0_873 Depth=1
                                        ;     Parent Loop BB0_902 Depth=2
                                        ; =>    This Inner Loop Header: Depth=3
	s_add_u32 s28, s0, s24
	s_addc_u32 s29, s1, s25
	global_load_ubyte v2, v3, s[28:29]
	s_add_u32 s24, s24, 1
	s_addc_u32 s25, s25, 0
	s_waitcnt vmcnt(0)
	v_and_b32_e32 v2, 0xffff, v2
	v_lshlrev_b64 v[8:9], s22, v[2:3]
	s_add_u32 s22, s22, 8
	s_addc_u32 s23, s23, 0
	v_or_b32_e32 v28, v8, v28
	s_cmp_lg_u32 s26, s24
	v_or_b32_e32 v29, v9, v29
	s_cbranch_scc1 .LBB0_944
	s_branch .LBB0_947
.LBB0_945:                              ;   in Loop: Header=BB0_902 Depth=2
                                        ; implicit-def: $vgpr28_vgpr29
                                        ; implicit-def: $sgpr27
	s_branch .LBB0_948
.LBB0_946:                              ;   in Loop: Header=BB0_902 Depth=2
	v_pk_mov_b32 v[28:29], 0, 0
.LBB0_947:                              ;   in Loop: Header=BB0_902 Depth=2
	s_mov_b32 s27, 0
	s_cbranch_execnz .LBB0_949
.LBB0_948:                              ;   in Loop: Header=BB0_902 Depth=2
	global_load_dwordx2 v[28:29], v3, s[0:1]
	s_add_i32 s27, s26, -8
	s_add_u32 s0, s0, 8
	s_addc_u32 s1, s1, 0
.LBB0_949:                              ;   in Loop: Header=BB0_902 Depth=2
	s_cmp_gt_u32 s27, 7
	s_cbranch_scc1 .LBB0_953
; %bb.950:                              ;   in Loop: Header=BB0_902 Depth=2
	s_cmp_eq_u32 s27, 0
	s_cbranch_scc1 .LBB0_954
; %bb.951:                              ;   in Loop: Header=BB0_902 Depth=2
	s_mov_b64 s[22:23], 0
	v_pk_mov_b32 v[30:31], 0, 0
	s_mov_b64 s[24:25], s[0:1]
.LBB0_952:                              ;   Parent Loop BB0_873 Depth=1
                                        ;     Parent Loop BB0_902 Depth=2
                                        ; =>    This Inner Loop Header: Depth=3
	global_load_ubyte v2, v3, s[24:25]
	s_add_i32 s27, s27, -1
	s_waitcnt vmcnt(0)
	v_and_b32_e32 v2, 0xffff, v2
	v_lshlrev_b64 v[8:9], s22, v[2:3]
	s_add_u32 s22, s22, 8
	s_addc_u32 s23, s23, 0
	s_add_u32 s24, s24, 1
	s_addc_u32 s25, s25, 0
	v_or_b32_e32 v30, v8, v30
	s_cmp_lg_u32 s27, 0
	v_or_b32_e32 v31, v9, v31
	s_cbranch_scc1 .LBB0_952
	s_branch .LBB0_955
.LBB0_953:                              ;   in Loop: Header=BB0_902 Depth=2
	s_branch .LBB0_956
.LBB0_954:                              ;   in Loop: Header=BB0_902 Depth=2
	v_pk_mov_b32 v[30:31], 0, 0
.LBB0_955:                              ;   in Loop: Header=BB0_902 Depth=2
	s_cbranch_execnz .LBB0_957
.LBB0_956:                              ;   in Loop: Header=BB0_902 Depth=2
	global_load_dwordx2 v[30:31], v3, s[0:1]
.LBB0_957:                              ;   in Loop: Header=BB0_902 Depth=2
	v_readfirstlane_b32 s0, v42
	v_cmp_eq_u32_e64 s[0:1], s0, v42
	v_pk_mov_b32 v[8:9], 0, 0
	s_and_saveexec_b64 s[22:23], s[0:1]
	s_cbranch_execz .LBB0_963
; %bb.958:                              ;   in Loop: Header=BB0_902 Depth=2
	global_load_dwordx2 v[34:35], v3, s[2:3] offset:24 glc
	s_waitcnt vmcnt(0)
	buffer_invl2
	buffer_wbinvl1_vol
	global_load_dwordx2 v[8:9], v3, s[2:3] offset:40
	global_load_dwordx2 v[32:33], v3, s[2:3]
	s_waitcnt vmcnt(1)
	v_and_b32_e32 v2, v8, v34
	v_and_b32_e32 v8, v9, v35
	v_mul_lo_u32 v8, v8, 24
	v_mul_hi_u32 v9, v2, 24
	v_mul_lo_u32 v2, v2, 24
	v_add_u32_e32 v9, v9, v8
	s_waitcnt vmcnt(0)
	v_add_co_u32_e32 v8, vcc, v32, v2
	v_addc_co_u32_e32 v9, vcc, v33, v9, vcc
	global_load_dwordx2 v[32:33], v[8:9], off glc
	s_waitcnt vmcnt(0)
	global_atomic_cmpswap_x2 v[8:9], v3, v[32:35], s[2:3] offset:24 glc
	s_waitcnt vmcnt(0)
	buffer_invl2
	buffer_wbinvl1_vol
	v_cmp_ne_u64_e32 vcc, v[8:9], v[34:35]
	s_and_saveexec_b64 s[24:25], vcc
	s_cbranch_execz .LBB0_962
; %bb.959:                              ;   in Loop: Header=BB0_902 Depth=2
	s_mov_b64 s[26:27], 0
.LBB0_960:                              ;   Parent Loop BB0_873 Depth=1
                                        ;     Parent Loop BB0_902 Depth=2
                                        ; =>    This Inner Loop Header: Depth=3
	s_sleep 1
	global_load_dwordx2 v[32:33], v3, s[2:3] offset:40
	global_load_dwordx2 v[38:39], v3, s[2:3]
	v_pk_mov_b32 v[34:35], v[8:9], v[8:9] op_sel:[0,1]
	s_waitcnt vmcnt(1)
	v_and_b32_e32 v2, v32, v34
	s_waitcnt vmcnt(0)
	v_mad_u64_u32 v[8:9], s[28:29], v2, 24, v[38:39]
	v_and_b32_e32 v33, v33, v35
	v_mov_b32_e32 v2, v9
	v_mad_u64_u32 v[32:33], s[28:29], v33, 24, v[2:3]
	v_mov_b32_e32 v9, v32
	global_load_dwordx2 v[32:33], v[8:9], off glc
	s_waitcnt vmcnt(0)
	global_atomic_cmpswap_x2 v[8:9], v3, v[32:35], s[2:3] offset:24 glc
	s_waitcnt vmcnt(0)
	buffer_invl2
	buffer_wbinvl1_vol
	v_cmp_eq_u64_e32 vcc, v[8:9], v[34:35]
	s_or_b64 s[26:27], vcc, s[26:27]
	s_andn2_b64 exec, exec, s[26:27]
	s_cbranch_execnz .LBB0_960
; %bb.961:                              ;   in Loop: Header=BB0_902 Depth=2
	s_or_b64 exec, exec, s[26:27]
.LBB0_962:                              ;   in Loop: Header=BB0_902 Depth=2
	s_or_b64 exec, exec, s[24:25]
.LBB0_963:                              ;   in Loop: Header=BB0_902 Depth=2
	s_or_b64 exec, exec, s[22:23]
	global_load_dwordx2 v[38:39], v3, s[2:3] offset:40
	global_load_dwordx4 v[32:35], v3, s[2:3]
	v_readfirstlane_b32 s22, v8
	v_readfirstlane_b32 s23, v9
	s_mov_b64 s[24:25], exec
	s_waitcnt vmcnt(1)
	v_readfirstlane_b32 s26, v38
	v_readfirstlane_b32 s27, v39
	s_and_b64 s[26:27], s[22:23], s[26:27]
	s_mul_i32 s28, s27, 24
	s_mul_hi_u32 s29, s26, 24
	s_mul_i32 s33, s26, 24
	s_add_i32 s28, s29, s28
	v_mov_b32_e32 v2, s28
	s_waitcnt vmcnt(0)
	v_add_co_u32_e32 v38, vcc, s33, v32
	v_addc_co_u32_e32 v39, vcc, v33, v2, vcc
	s_and_saveexec_b64 s[28:29], s[0:1]
	s_cbranch_execz .LBB0_965
; %bb.964:                              ;   in Loop: Header=BB0_902 Depth=2
	v_pk_mov_b32 v[8:9], s[24:25], s[24:25] op_sel:[0,1]
	global_store_dwordx4 v[38:39], v[8:11], off offset:8
.LBB0_965:                              ;   in Loop: Header=BB0_902 Depth=2
	s_or_b64 exec, exec, s[28:29]
	s_lshl_b64 s[24:25], s[26:27], 12
	v_mov_b32_e32 v2, s25
	v_add_co_u32_e32 v8, vcc, s24, v34
	v_addc_co_u32_e32 v9, vcc, v35, v2, vcc
	v_or_b32_e32 v2, 0, v17
	v_or_b32_e32 v34, v16, v36
	v_cmp_gt_u64_e64 vcc, s[18:19], 56
	s_lshl_b32 s24, s20, 2
	v_cndmask_b32_e32 v17, v2, v17, vcc
	v_cndmask_b32_e32 v2, v34, v16, vcc
	s_add_i32 s24, s24, 28
	s_and_b32 s24, s24, 0x1e0
	v_and_b32_e32 v2, 0xffffff1f, v2
	v_or_b32_e32 v16, s24, v2
	v_readfirstlane_b32 s24, v8
	v_readfirstlane_b32 s25, v9
	s_nop 4
	global_store_dwordx4 v43, v[16:19], s[24:25]
	global_store_dwordx4 v43, v[20:23], s[24:25] offset:16
	global_store_dwordx4 v43, v[24:27], s[24:25] offset:32
	;; [unrolled: 1-line block ×3, first 2 shown]
	s_and_saveexec_b64 s[24:25], s[0:1]
	s_cbranch_execz .LBB0_973
; %bb.966:                              ;   in Loop: Header=BB0_902 Depth=2
	global_load_dwordx2 v[24:25], v3, s[2:3] offset:32 glc
	global_load_dwordx2 v[16:17], v3, s[2:3] offset:40
	v_mov_b32_e32 v22, s22
	v_mov_b32_e32 v23, s23
	s_waitcnt vmcnt(0)
	v_readfirstlane_b32 s26, v16
	v_readfirstlane_b32 s27, v17
	s_and_b64 s[26:27], s[26:27], s[22:23]
	s_mul_i32 s27, s27, 24
	s_mul_hi_u32 s28, s26, 24
	s_mul_i32 s26, s26, 24
	s_add_i32 s27, s28, s27
	v_mov_b32_e32 v2, s27
	v_add_co_u32_e32 v20, vcc, s26, v32
	v_addc_co_u32_e32 v21, vcc, v33, v2, vcc
	global_store_dwordx2 v[20:21], v[24:25], off
	buffer_wbl2
	s_waitcnt vmcnt(0)
	global_atomic_cmpswap_x2 v[18:19], v3, v[22:25], s[2:3] offset:32 glc
	s_waitcnt vmcnt(0)
	v_cmp_ne_u64_e32 vcc, v[18:19], v[24:25]
	s_and_saveexec_b64 s[26:27], vcc
	s_cbranch_execz .LBB0_969
; %bb.967:                              ;   in Loop: Header=BB0_902 Depth=2
	s_mov_b64 s[28:29], 0
.LBB0_968:                              ;   Parent Loop BB0_873 Depth=1
                                        ;     Parent Loop BB0_902 Depth=2
                                        ; =>    This Inner Loop Header: Depth=3
	s_sleep 1
	global_store_dwordx2 v[20:21], v[18:19], off
	v_mov_b32_e32 v16, s22
	v_mov_b32_e32 v17, s23
	buffer_wbl2
	s_waitcnt vmcnt(0)
	global_atomic_cmpswap_x2 v[16:17], v3, v[16:19], s[2:3] offset:32 glc
	s_waitcnt vmcnt(0)
	v_cmp_eq_u64_e32 vcc, v[16:17], v[18:19]
	s_or_b64 s[28:29], vcc, s[28:29]
	v_pk_mov_b32 v[18:19], v[16:17], v[16:17] op_sel:[0,1]
	s_andn2_b64 exec, exec, s[28:29]
	s_cbranch_execnz .LBB0_968
.LBB0_969:                              ;   in Loop: Header=BB0_902 Depth=2
	s_or_b64 exec, exec, s[26:27]
	global_load_dwordx2 v[16:17], v3, s[2:3] offset:16
	s_mov_b64 s[28:29], exec
	v_mbcnt_lo_u32_b32 v2, s28, 0
	v_mbcnt_hi_u32_b32 v2, s29, v2
	v_cmp_eq_u32_e32 vcc, 0, v2
	s_and_saveexec_b64 s[26:27], vcc
	s_cbranch_execz .LBB0_971
; %bb.970:                              ;   in Loop: Header=BB0_902 Depth=2
	s_bcnt1_i32_b64 s28, s[28:29]
	v_mov_b32_e32 v2, s28
	buffer_wbl2
	s_waitcnt vmcnt(0)
	global_atomic_add_x2 v[16:17], v[2:3], off offset:8
.LBB0_971:                              ;   in Loop: Header=BB0_902 Depth=2
	s_or_b64 exec, exec, s[26:27]
	s_waitcnt vmcnt(0)
	global_load_dwordx2 v[18:19], v[16:17], off offset:16
	s_waitcnt vmcnt(0)
	v_cmp_eq_u64_e32 vcc, 0, v[18:19]
	s_cbranch_vccnz .LBB0_973
; %bb.972:                              ;   in Loop: Header=BB0_902 Depth=2
	global_load_dword v2, v[16:17], off offset:24
	buffer_wbl2
	s_waitcnt vmcnt(0)
	global_store_dwordx2 v[18:19], v[2:3], off
	v_and_b32_e32 v2, 0xffffff, v2
	v_readfirstlane_b32 m0, v2
	s_sendmsg sendmsg(MSG_INTERRUPT)
.LBB0_973:                              ;   in Loop: Header=BB0_902 Depth=2
	s_or_b64 exec, exec, s[24:25]
	v_add_co_u32_e32 v8, vcc, v8, v43
	v_addc_co_u32_e32 v9, vcc, 0, v9, vcc
	s_branch .LBB0_977
.LBB0_974:                              ;   in Loop: Header=BB0_977 Depth=3
	s_or_b64 exec, exec, s[24:25]
	v_readfirstlane_b32 s24, v2
	s_cmp_eq_u32 s24, 0
	s_cbranch_scc1 .LBB0_976
; %bb.975:                              ;   in Loop: Header=BB0_977 Depth=3
	s_sleep 1
	s_cbranch_execnz .LBB0_977
	s_branch .LBB0_979
.LBB0_976:                              ;   in Loop: Header=BB0_902 Depth=2
	s_branch .LBB0_979
.LBB0_977:                              ;   Parent Loop BB0_873 Depth=1
                                        ;     Parent Loop BB0_902 Depth=2
                                        ; =>    This Inner Loop Header: Depth=3
	v_mov_b32_e32 v2, 1
	s_and_saveexec_b64 s[24:25], s[0:1]
	s_cbranch_execz .LBB0_974
; %bb.978:                              ;   in Loop: Header=BB0_977 Depth=3
	global_load_dword v2, v[38:39], off offset:20 glc
	s_waitcnt vmcnt(0)
	buffer_invl2
	buffer_wbinvl1_vol
	v_and_b32_e32 v2, 1, v2
	s_branch .LBB0_974
.LBB0_979:                              ;   in Loop: Header=BB0_902 Depth=2
	global_load_dwordx4 v[16:19], v[8:9], off
	s_and_saveexec_b64 s[24:25], s[0:1]
	s_cbranch_execz .LBB0_901
; %bb.980:                              ;   in Loop: Header=BB0_902 Depth=2
	global_load_dwordx2 v[8:9], v3, s[2:3] offset:40
	global_load_dwordx2 v[22:23], v3, s[2:3] offset:24 glc
	global_load_dwordx2 v[24:25], v3, s[2:3]
	v_mov_b32_e32 v2, s23
	s_waitcnt vmcnt(2)
	v_add_co_u32_e32 v21, vcc, 1, v8
	v_addc_co_u32_e32 v26, vcc, 0, v9, vcc
	v_add_co_u32_e32 v18, vcc, s22, v21
	v_addc_co_u32_e32 v19, vcc, v26, v2, vcc
	v_cmp_eq_u64_e32 vcc, 0, v[18:19]
	v_cndmask_b32_e32 v19, v19, v26, vcc
	v_cndmask_b32_e32 v18, v18, v21, vcc
	v_and_b32_e32 v2, v19, v9
	v_and_b32_e32 v8, v18, v8
	v_mul_lo_u32 v2, v2, 24
	v_mul_hi_u32 v9, v8, 24
	v_mul_lo_u32 v8, v8, 24
	v_add_u32_e32 v2, v9, v2
	s_waitcnt vmcnt(0)
	v_add_co_u32_e32 v8, vcc, v24, v8
	v_addc_co_u32_e32 v9, vcc, v25, v2, vcc
	v_mov_b32_e32 v20, v22
	global_store_dwordx2 v[8:9], v[22:23], off
	v_mov_b32_e32 v21, v23
	buffer_wbl2
	s_waitcnt vmcnt(0)
	global_atomic_cmpswap_x2 v[20:21], v3, v[18:21], s[2:3] offset:24 glc
	s_waitcnt vmcnt(0)
	v_cmp_ne_u64_e32 vcc, v[20:21], v[22:23]
	s_and_b64 exec, exec, vcc
	s_cbranch_execz .LBB0_901
; %bb.981:                              ;   in Loop: Header=BB0_902 Depth=2
	s_mov_b64 s[0:1], 0
.LBB0_982:                              ;   Parent Loop BB0_873 Depth=1
                                        ;     Parent Loop BB0_902 Depth=2
                                        ; =>    This Inner Loop Header: Depth=3
	s_sleep 1
	global_store_dwordx2 v[8:9], v[20:21], off
	buffer_wbl2
	s_waitcnt vmcnt(0)
	global_atomic_cmpswap_x2 v[22:23], v3, v[18:21], s[2:3] offset:24 glc
	s_waitcnt vmcnt(0)
	v_cmp_eq_u64_e32 vcc, v[22:23], v[20:21]
	s_or_b64 s[0:1], vcc, s[0:1]
	v_pk_mov_b32 v[20:21], v[22:23], v[22:23] op_sel:[0,1]
	s_andn2_b64 exec, exec, s[0:1]
	s_cbranch_execnz .LBB0_982
	s_branch .LBB0_901
.LBB0_983:                              ;   in Loop: Header=BB0_873 Depth=1
	s_branch .LBB0_1012
.LBB0_984:                              ;   in Loop: Header=BB0_873 Depth=1
                                        ; implicit-def: $vgpr16_vgpr17
	s_cbranch_execz .LBB0_1012
; %bb.985:                              ;   in Loop: Header=BB0_873 Depth=1
	v_readfirstlane_b32 s0, v42
	v_cmp_eq_u32_e64 s[0:1], s0, v42
	v_pk_mov_b32 v[8:9], 0, 0
	s_and_saveexec_b64 s[14:15], s[0:1]
	s_cbranch_execz .LBB0_991
; %bb.986:                              ;   in Loop: Header=BB0_873 Depth=1
	global_load_dwordx2 v[18:19], v3, s[2:3] offset:24 glc
	s_waitcnt vmcnt(0)
	buffer_invl2
	buffer_wbinvl1_vol
	global_load_dwordx2 v[8:9], v3, s[2:3] offset:40
	global_load_dwordx2 v[16:17], v3, s[2:3]
	s_waitcnt vmcnt(1)
	v_and_b32_e32 v2, v8, v18
	v_and_b32_e32 v8, v9, v19
	v_mul_lo_u32 v8, v8, 24
	v_mul_hi_u32 v9, v2, 24
	v_mul_lo_u32 v2, v2, 24
	v_add_u32_e32 v9, v9, v8
	s_waitcnt vmcnt(0)
	v_add_co_u32_e32 v8, vcc, v16, v2
	v_addc_co_u32_e32 v9, vcc, v17, v9, vcc
	global_load_dwordx2 v[16:17], v[8:9], off glc
	s_waitcnt vmcnt(0)
	global_atomic_cmpswap_x2 v[8:9], v3, v[16:19], s[2:3] offset:24 glc
	s_waitcnt vmcnt(0)
	buffer_invl2
	buffer_wbinvl1_vol
	v_cmp_ne_u64_e32 vcc, v[8:9], v[18:19]
	s_and_saveexec_b64 s[18:19], vcc
	s_cbranch_execz .LBB0_990
; %bb.987:                              ;   in Loop: Header=BB0_873 Depth=1
	s_mov_b64 s[20:21], 0
.LBB0_988:                              ;   Parent Loop BB0_873 Depth=1
                                        ; =>  This Inner Loop Header: Depth=2
	s_sleep 1
	global_load_dwordx2 v[16:17], v3, s[2:3] offset:40
	global_load_dwordx2 v[20:21], v3, s[2:3]
	v_pk_mov_b32 v[18:19], v[8:9], v[8:9] op_sel:[0,1]
	s_waitcnt vmcnt(1)
	v_and_b32_e32 v2, v16, v18
	s_waitcnt vmcnt(0)
	v_mad_u64_u32 v[8:9], s[22:23], v2, 24, v[20:21]
	v_and_b32_e32 v17, v17, v19
	v_mov_b32_e32 v2, v9
	v_mad_u64_u32 v[16:17], s[22:23], v17, 24, v[2:3]
	v_mov_b32_e32 v9, v16
	global_load_dwordx2 v[16:17], v[8:9], off glc
	s_waitcnt vmcnt(0)
	global_atomic_cmpswap_x2 v[8:9], v3, v[16:19], s[2:3] offset:24 glc
	s_waitcnt vmcnt(0)
	buffer_invl2
	buffer_wbinvl1_vol
	v_cmp_eq_u64_e32 vcc, v[8:9], v[18:19]
	s_or_b64 s[20:21], vcc, s[20:21]
	s_andn2_b64 exec, exec, s[20:21]
	s_cbranch_execnz .LBB0_988
; %bb.989:                              ;   in Loop: Header=BB0_873 Depth=1
	s_or_b64 exec, exec, s[20:21]
.LBB0_990:                              ;   in Loop: Header=BB0_873 Depth=1
	s_or_b64 exec, exec, s[18:19]
.LBB0_991:                              ;   in Loop: Header=BB0_873 Depth=1
	s_or_b64 exec, exec, s[14:15]
	global_load_dwordx2 v[20:21], v3, s[2:3] offset:40
	global_load_dwordx4 v[16:19], v3, s[2:3]
	v_readfirstlane_b32 s14, v8
	v_readfirstlane_b32 s15, v9
	s_mov_b64 s[18:19], exec
	s_waitcnt vmcnt(1)
	v_readfirstlane_b32 s20, v20
	v_readfirstlane_b32 s21, v21
	s_and_b64 s[20:21], s[14:15], s[20:21]
	s_mul_i32 s22, s21, 24
	s_mul_hi_u32 s23, s20, 24
	s_mul_i32 s24, s20, 24
	s_add_i32 s22, s23, s22
	v_mov_b32_e32 v2, s22
	s_waitcnt vmcnt(0)
	v_add_co_u32_e32 v20, vcc, s24, v16
	v_addc_co_u32_e32 v21, vcc, v17, v2, vcc
	s_and_saveexec_b64 s[22:23], s[0:1]
	s_cbranch_execz .LBB0_993
; %bb.992:                              ;   in Loop: Header=BB0_873 Depth=1
	v_pk_mov_b32 v[8:9], s[18:19], s[18:19] op_sel:[0,1]
	global_store_dwordx4 v[20:21], v[8:11], off offset:8
.LBB0_993:                              ;   in Loop: Header=BB0_873 Depth=1
	s_or_b64 exec, exec, s[22:23]
	s_lshl_b64 s[18:19], s[20:21], 12
	v_mov_b32_e32 v2, s19
	v_add_co_u32_e32 v8, vcc, s18, v18
	v_addc_co_u32_e32 v9, vcc, v19, v2, vcc
	v_pk_mov_b32 v[24:25], s[6:7], s[6:7] op_sel:[0,1]
	v_and_or_b32 v0, v0, s8, 32
	v_mov_b32_e32 v2, v3
	v_readfirstlane_b32 s18, v8
	v_readfirstlane_b32 s19, v9
	v_pk_mov_b32 v[22:23], s[4:5], s[4:5] op_sel:[0,1]
	s_nop 3
	global_store_dwordx4 v43, v[0:3], s[18:19]
	global_store_dwordx4 v43, v[22:25], s[18:19] offset:16
	global_store_dwordx4 v43, v[22:25], s[18:19] offset:32
	;; [unrolled: 1-line block ×3, first 2 shown]
	s_and_saveexec_b64 s[18:19], s[0:1]
	s_cbranch_execz .LBB0_1001
; %bb.994:                              ;   in Loop: Header=BB0_873 Depth=1
	global_load_dwordx2 v[24:25], v3, s[2:3] offset:32 glc
	global_load_dwordx2 v[0:1], v3, s[2:3] offset:40
	v_mov_b32_e32 v22, s14
	v_mov_b32_e32 v23, s15
	s_waitcnt vmcnt(0)
	v_readfirstlane_b32 s20, v0
	v_readfirstlane_b32 s21, v1
	s_and_b64 s[20:21], s[20:21], s[14:15]
	s_mul_i32 s21, s21, 24
	s_mul_hi_u32 s22, s20, 24
	s_mul_i32 s20, s20, 24
	s_add_i32 s21, s22, s21
	v_mov_b32_e32 v1, s21
	v_add_co_u32_e32 v0, vcc, s20, v16
	v_addc_co_u32_e32 v1, vcc, v17, v1, vcc
	global_store_dwordx2 v[0:1], v[24:25], off
	buffer_wbl2
	s_waitcnt vmcnt(0)
	global_atomic_cmpswap_x2 v[18:19], v3, v[22:25], s[2:3] offset:32 glc
	s_waitcnt vmcnt(0)
	v_cmp_ne_u64_e32 vcc, v[18:19], v[24:25]
	s_and_saveexec_b64 s[20:21], vcc
	s_cbranch_execz .LBB0_997
; %bb.995:                              ;   in Loop: Header=BB0_873 Depth=1
	s_mov_b64 s[22:23], 0
.LBB0_996:                              ;   Parent Loop BB0_873 Depth=1
                                        ; =>  This Inner Loop Header: Depth=2
	s_sleep 1
	global_store_dwordx2 v[0:1], v[18:19], off
	v_mov_b32_e32 v16, s14
	v_mov_b32_e32 v17, s15
	buffer_wbl2
	s_waitcnt vmcnt(0)
	global_atomic_cmpswap_x2 v[16:17], v3, v[16:19], s[2:3] offset:32 glc
	s_waitcnt vmcnt(0)
	v_cmp_eq_u64_e32 vcc, v[16:17], v[18:19]
	s_or_b64 s[22:23], vcc, s[22:23]
	v_pk_mov_b32 v[18:19], v[16:17], v[16:17] op_sel:[0,1]
	s_andn2_b64 exec, exec, s[22:23]
	s_cbranch_execnz .LBB0_996
.LBB0_997:                              ;   in Loop: Header=BB0_873 Depth=1
	s_or_b64 exec, exec, s[20:21]
	global_load_dwordx2 v[0:1], v3, s[2:3] offset:16
	s_mov_b64 s[22:23], exec
	v_mbcnt_lo_u32_b32 v2, s22, 0
	v_mbcnt_hi_u32_b32 v2, s23, v2
	v_cmp_eq_u32_e32 vcc, 0, v2
	s_and_saveexec_b64 s[20:21], vcc
	s_cbranch_execz .LBB0_999
; %bb.998:                              ;   in Loop: Header=BB0_873 Depth=1
	s_bcnt1_i32_b64 s22, s[22:23]
	v_mov_b32_e32 v2, s22
	buffer_wbl2
	s_waitcnt vmcnt(0)
	global_atomic_add_x2 v[0:1], v[2:3], off offset:8
.LBB0_999:                              ;   in Loop: Header=BB0_873 Depth=1
	s_or_b64 exec, exec, s[20:21]
	s_waitcnt vmcnt(0)
	global_load_dwordx2 v[16:17], v[0:1], off offset:16
	s_waitcnt vmcnt(0)
	v_cmp_eq_u64_e32 vcc, 0, v[16:17]
	s_cbranch_vccnz .LBB0_1001
; %bb.1000:                             ;   in Loop: Header=BB0_873 Depth=1
	global_load_dword v2, v[0:1], off offset:24
	s_waitcnt vmcnt(0)
	v_and_b32_e32 v0, 0xffffff, v2
	v_readfirstlane_b32 m0, v0
	buffer_wbl2
	global_store_dwordx2 v[16:17], v[2:3], off
	s_sendmsg sendmsg(MSG_INTERRUPT)
.LBB0_1001:                             ;   in Loop: Header=BB0_873 Depth=1
	s_or_b64 exec, exec, s[18:19]
	v_add_co_u32_e32 v0, vcc, v8, v43
	v_addc_co_u32_e32 v1, vcc, 0, v9, vcc
	s_branch .LBB0_1005
.LBB0_1002:                             ;   in Loop: Header=BB0_1005 Depth=2
	s_or_b64 exec, exec, s[18:19]
	v_readfirstlane_b32 s18, v2
	s_cmp_eq_u32 s18, 0
	s_cbranch_scc1 .LBB0_1004
; %bb.1003:                             ;   in Loop: Header=BB0_1005 Depth=2
	s_sleep 1
	s_cbranch_execnz .LBB0_1005
	s_branch .LBB0_1007
.LBB0_1004:                             ;   in Loop: Header=BB0_873 Depth=1
	s_branch .LBB0_1007
.LBB0_1005:                             ;   Parent Loop BB0_873 Depth=1
                                        ; =>  This Inner Loop Header: Depth=2
	v_mov_b32_e32 v2, 1
	s_and_saveexec_b64 s[18:19], s[0:1]
	s_cbranch_execz .LBB0_1002
; %bb.1006:                             ;   in Loop: Header=BB0_1005 Depth=2
	global_load_dword v2, v[20:21], off offset:20 glc
	s_waitcnt vmcnt(0)
	buffer_invl2
	buffer_wbinvl1_vol
	v_and_b32_e32 v2, 1, v2
	s_branch .LBB0_1002
.LBB0_1007:                             ;   in Loop: Header=BB0_873 Depth=1
	global_load_dwordx2 v[16:17], v[0:1], off
	s_and_saveexec_b64 s[18:19], s[0:1]
	s_cbranch_execz .LBB0_1011
; %bb.1008:                             ;   in Loop: Header=BB0_873 Depth=1
	global_load_dwordx2 v[0:1], v3, s[2:3] offset:40
	global_load_dwordx2 v[8:9], v3, s[2:3] offset:24 glc
	global_load_dwordx2 v[22:23], v3, s[2:3]
	v_mov_b32_e32 v2, s15
	s_waitcnt vmcnt(2)
	v_add_co_u32_e32 v21, vcc, 1, v0
	v_addc_co_u32_e32 v24, vcc, 0, v1, vcc
	v_add_co_u32_e32 v18, vcc, s14, v21
	v_addc_co_u32_e32 v19, vcc, v24, v2, vcc
	v_cmp_eq_u64_e32 vcc, 0, v[18:19]
	v_cndmask_b32_e32 v19, v19, v24, vcc
	v_cndmask_b32_e32 v18, v18, v21, vcc
	v_and_b32_e32 v1, v19, v1
	v_and_b32_e32 v0, v18, v0
	v_mul_lo_u32 v1, v1, 24
	v_mul_hi_u32 v2, v0, 24
	v_mul_lo_u32 v0, v0, 24
	v_add_u32_e32 v1, v2, v1
	s_waitcnt vmcnt(0)
	v_add_co_u32_e32 v0, vcc, v22, v0
	v_addc_co_u32_e32 v1, vcc, v23, v1, vcc
	v_mov_b32_e32 v20, v8
	global_store_dwordx2 v[0:1], v[8:9], off
	v_mov_b32_e32 v21, v9
	buffer_wbl2
	s_waitcnt vmcnt(0)
	global_atomic_cmpswap_x2 v[20:21], v3, v[18:21], s[2:3] offset:24 glc
	s_waitcnt vmcnt(0)
	v_cmp_ne_u64_e32 vcc, v[20:21], v[8:9]
	s_and_b64 exec, exec, vcc
	s_cbranch_execz .LBB0_1011
; %bb.1009:                             ;   in Loop: Header=BB0_873 Depth=1
	s_mov_b64 s[0:1], 0
.LBB0_1010:                             ;   Parent Loop BB0_873 Depth=1
                                        ; =>  This Inner Loop Header: Depth=2
	s_sleep 1
	global_store_dwordx2 v[0:1], v[20:21], off
	buffer_wbl2
	s_waitcnt vmcnt(0)
	global_atomic_cmpswap_x2 v[8:9], v3, v[18:21], s[2:3] offset:24 glc
	s_waitcnt vmcnt(0)
	v_cmp_eq_u64_e32 vcc, v[8:9], v[20:21]
	s_or_b64 s[0:1], vcc, s[0:1]
	v_pk_mov_b32 v[20:21], v[8:9], v[8:9] op_sel:[0,1]
	s_andn2_b64 exec, exec, s[0:1]
	s_cbranch_execnz .LBB0_1010
.LBB0_1011:                             ;   in Loop: Header=BB0_873 Depth=1
	s_or_b64 exec, exec, s[18:19]
.LBB0_1012:                             ;   in Loop: Header=BB0_873 Depth=1
	s_and_b32 s18, s31, 1
	s_getpc_b64 s[0:1]
	s_add_u32 s0, s0, .str.4@rel32@lo+4
	s_addc_u32 s1, s1, .str.4@rel32@hi+12
	s_getpc_b64 s[14:15]
	s_add_u32 s14, s14, .str.3@rel32@lo+4
	s_addc_u32 s15, s15, .str.3@rel32@hi+12
	s_cmp_eq_u32 s18, 0
	s_cselect_b32 s15, s1, s15
	s_cselect_b32 s14, s0, s14
	s_cmp_lg_u64 s[14:15], 0
	s_cselect_b64 s[0:1], -1, 0
	s_cmp_eq_u64 s[14:15], 0
	s_mov_b64 s[18:19], 0
	s_cbranch_scc1 .LBB0_1016
; %bb.1013:                             ;   in Loop: Header=BB0_873 Depth=1
	s_add_u32 s18, s14, -1
	s_addc_u32 s19, s15, -1
.LBB0_1014:                             ;   Parent Loop BB0_873 Depth=1
                                        ; =>  This Inner Loop Header: Depth=2
	global_load_ubyte v0, v3, s[18:19] offset:1
	s_add_u32 s20, s18, 1
	s_addc_u32 s21, s19, 0
	s_mov_b64 s[18:19], s[20:21]
	s_waitcnt vmcnt(0)
	v_cmp_ne_u16_e32 vcc, 0, v0
	s_cbranch_vccnz .LBB0_1014
; %bb.1015:                             ;   in Loop: Header=BB0_873 Depth=1
	s_sub_u32 s18, s20, s14
	s_subb_u32 s19, s21, s15
	s_add_u32 s18, s18, 1
	s_addc_u32 s19, s19, 0
.LBB0_1016:                             ;   in Loop: Header=BB0_873 Depth=1
	s_and_b64 vcc, exec, s[0:1]
	s_cbranch_vccz .LBB0_1101
; %bb.1017:                             ;   in Loop: Header=BB0_873 Depth=1
	s_waitcnt vmcnt(0)
	v_and_b32_e32 v0, 2, v16
	v_and_b32_e32 v18, -3, v16
	v_mov_b32_e32 v19, v17
	s_branch .LBB0_1019
.LBB0_1018:                             ;   in Loop: Header=BB0_1019 Depth=2
	s_or_b64 exec, exec, s[24:25]
	s_sub_u32 s18, s18, s20
	s_subb_u32 s19, s19, s21
	s_add_u32 s14, s14, s20
	s_addc_u32 s15, s15, s21
	s_cmp_lg_u64 s[18:19], 0
	s_cbranch_scc0 .LBB0_1100
.LBB0_1019:                             ;   Parent Loop BB0_873 Depth=1
                                        ; =>  This Loop Header: Depth=2
                                        ;       Child Loop BB0_1022 Depth 3
                                        ;       Child Loop BB0_1029 Depth 3
	;; [unrolled: 1-line block ×11, first 2 shown]
	v_cmp_lt_u64_e64 s[0:1], s[18:19], 56
	s_and_b64 s[0:1], s[0:1], exec
	v_cmp_gt_u64_e64 s[0:1], s[18:19], 7
	s_cselect_b32 s21, s19, 0
	s_cselect_b32 s20, s18, 56
	s_and_b64 vcc, exec, s[0:1]
	s_cbranch_vccnz .LBB0_1024
; %bb.1020:                             ;   in Loop: Header=BB0_1019 Depth=2
	s_mov_b64 s[0:1], 0
	s_cmp_eq_u64 s[18:19], 0
	s_waitcnt vmcnt(0)
	v_pk_mov_b32 v[20:21], 0, 0
	s_cbranch_scc1 .LBB0_1023
; %bb.1021:                             ;   in Loop: Header=BB0_1019 Depth=2
	s_lshl_b64 s[22:23], s[20:21], 3
	s_mov_b64 s[24:25], 0
	v_pk_mov_b32 v[20:21], 0, 0
	s_mov_b64 s[26:27], s[14:15]
.LBB0_1022:                             ;   Parent Loop BB0_873 Depth=1
                                        ;     Parent Loop BB0_1019 Depth=2
                                        ; =>    This Inner Loop Header: Depth=3
	global_load_ubyte v1, v3, s[26:27]
	s_waitcnt vmcnt(0)
	v_and_b32_e32 v2, 0xffff, v1
	v_lshlrev_b64 v[8:9], s24, v[2:3]
	s_add_u32 s24, s24, 8
	s_addc_u32 s25, s25, 0
	s_add_u32 s26, s26, 1
	s_addc_u32 s27, s27, 0
	v_or_b32_e32 v20, v8, v20
	s_cmp_lg_u32 s22, s24
	v_or_b32_e32 v21, v9, v21
	s_cbranch_scc1 .LBB0_1022
.LBB0_1023:                             ;   in Loop: Header=BB0_1019 Depth=2
	s_mov_b32 s26, 0
	s_andn2_b64 vcc, exec, s[0:1]
	s_mov_b64 s[0:1], s[14:15]
	s_cbranch_vccz .LBB0_1025
	s_branch .LBB0_1026
.LBB0_1024:                             ;   in Loop: Header=BB0_1019 Depth=2
                                        ; implicit-def: $vgpr20_vgpr21
                                        ; implicit-def: $sgpr26
	s_mov_b64 s[0:1], s[14:15]
.LBB0_1025:                             ;   in Loop: Header=BB0_1019 Depth=2
	global_load_dwordx2 v[20:21], v3, s[14:15]
	s_add_i32 s26, s20, -8
	s_add_u32 s0, s14, 8
	s_addc_u32 s1, s15, 0
.LBB0_1026:                             ;   in Loop: Header=BB0_1019 Depth=2
	s_cmp_gt_u32 s26, 7
	s_cbranch_scc1 .LBB0_1030
; %bb.1027:                             ;   in Loop: Header=BB0_1019 Depth=2
	s_cmp_eq_u32 s26, 0
	s_cbranch_scc1 .LBB0_1031
; %bb.1028:                             ;   in Loop: Header=BB0_1019 Depth=2
	s_mov_b64 s[22:23], 0
	v_pk_mov_b32 v[22:23], 0, 0
	s_mov_b64 s[24:25], 0
.LBB0_1029:                             ;   Parent Loop BB0_873 Depth=1
                                        ;     Parent Loop BB0_1019 Depth=2
                                        ; =>    This Inner Loop Header: Depth=3
	s_add_u32 s28, s0, s24
	s_addc_u32 s29, s1, s25
	global_load_ubyte v1, v3, s[28:29]
	s_add_u32 s24, s24, 1
	s_addc_u32 s25, s25, 0
	s_waitcnt vmcnt(0)
	v_and_b32_e32 v2, 0xffff, v1
	v_lshlrev_b64 v[8:9], s22, v[2:3]
	s_add_u32 s22, s22, 8
	s_addc_u32 s23, s23, 0
	v_or_b32_e32 v22, v8, v22
	s_cmp_lg_u32 s26, s24
	v_or_b32_e32 v23, v9, v23
	s_cbranch_scc1 .LBB0_1029
	s_branch .LBB0_1032
.LBB0_1030:                             ;   in Loop: Header=BB0_1019 Depth=2
                                        ; implicit-def: $vgpr22_vgpr23
                                        ; implicit-def: $sgpr27
	s_branch .LBB0_1033
.LBB0_1031:                             ;   in Loop: Header=BB0_1019 Depth=2
	v_pk_mov_b32 v[22:23], 0, 0
.LBB0_1032:                             ;   in Loop: Header=BB0_1019 Depth=2
	s_mov_b32 s27, 0
	s_cbranch_execnz .LBB0_1034
.LBB0_1033:                             ;   in Loop: Header=BB0_1019 Depth=2
	global_load_dwordx2 v[22:23], v3, s[0:1]
	s_add_i32 s27, s26, -8
	s_add_u32 s0, s0, 8
	s_addc_u32 s1, s1, 0
.LBB0_1034:                             ;   in Loop: Header=BB0_1019 Depth=2
	s_cmp_gt_u32 s27, 7
	s_cbranch_scc1 .LBB0_1038
; %bb.1035:                             ;   in Loop: Header=BB0_1019 Depth=2
	s_cmp_eq_u32 s27, 0
	s_cbranch_scc1 .LBB0_1039
; %bb.1036:                             ;   in Loop: Header=BB0_1019 Depth=2
	s_mov_b64 s[22:23], 0
	v_pk_mov_b32 v[24:25], 0, 0
	s_mov_b64 s[24:25], 0
.LBB0_1037:                             ;   Parent Loop BB0_873 Depth=1
                                        ;     Parent Loop BB0_1019 Depth=2
                                        ; =>    This Inner Loop Header: Depth=3
	s_add_u32 s28, s0, s24
	s_addc_u32 s29, s1, s25
	global_load_ubyte v1, v3, s[28:29]
	s_add_u32 s24, s24, 1
	s_addc_u32 s25, s25, 0
	s_waitcnt vmcnt(0)
	v_and_b32_e32 v2, 0xffff, v1
	v_lshlrev_b64 v[8:9], s22, v[2:3]
	s_add_u32 s22, s22, 8
	s_addc_u32 s23, s23, 0
	v_or_b32_e32 v24, v8, v24
	s_cmp_lg_u32 s27, s24
	v_or_b32_e32 v25, v9, v25
	s_cbranch_scc1 .LBB0_1037
	s_branch .LBB0_1040
.LBB0_1038:                             ;   in Loop: Header=BB0_1019 Depth=2
                                        ; implicit-def: $sgpr26
	s_branch .LBB0_1041
.LBB0_1039:                             ;   in Loop: Header=BB0_1019 Depth=2
	v_pk_mov_b32 v[24:25], 0, 0
.LBB0_1040:                             ;   in Loop: Header=BB0_1019 Depth=2
	s_mov_b32 s26, 0
	s_cbranch_execnz .LBB0_1042
.LBB0_1041:                             ;   in Loop: Header=BB0_1019 Depth=2
	global_load_dwordx2 v[24:25], v3, s[0:1]
	s_add_i32 s26, s27, -8
	s_add_u32 s0, s0, 8
	s_addc_u32 s1, s1, 0
.LBB0_1042:                             ;   in Loop: Header=BB0_1019 Depth=2
	s_cmp_gt_u32 s26, 7
	s_cbranch_scc1 .LBB0_1046
; %bb.1043:                             ;   in Loop: Header=BB0_1019 Depth=2
	s_cmp_eq_u32 s26, 0
	s_cbranch_scc1 .LBB0_1047
; %bb.1044:                             ;   in Loop: Header=BB0_1019 Depth=2
	s_mov_b64 s[22:23], 0
	v_pk_mov_b32 v[26:27], 0, 0
	s_mov_b64 s[24:25], 0
.LBB0_1045:                             ;   Parent Loop BB0_873 Depth=1
                                        ;     Parent Loop BB0_1019 Depth=2
                                        ; =>    This Inner Loop Header: Depth=3
	s_add_u32 s28, s0, s24
	s_addc_u32 s29, s1, s25
	global_load_ubyte v1, v3, s[28:29]
	s_add_u32 s24, s24, 1
	s_addc_u32 s25, s25, 0
	s_waitcnt vmcnt(0)
	v_and_b32_e32 v2, 0xffff, v1
	v_lshlrev_b64 v[8:9], s22, v[2:3]
	s_add_u32 s22, s22, 8
	s_addc_u32 s23, s23, 0
	v_or_b32_e32 v26, v8, v26
	s_cmp_lg_u32 s26, s24
	v_or_b32_e32 v27, v9, v27
	s_cbranch_scc1 .LBB0_1045
	s_branch .LBB0_1048
.LBB0_1046:                             ;   in Loop: Header=BB0_1019 Depth=2
                                        ; implicit-def: $vgpr26_vgpr27
                                        ; implicit-def: $sgpr27
	s_branch .LBB0_1049
.LBB0_1047:                             ;   in Loop: Header=BB0_1019 Depth=2
	v_pk_mov_b32 v[26:27], 0, 0
.LBB0_1048:                             ;   in Loop: Header=BB0_1019 Depth=2
	s_mov_b32 s27, 0
	s_cbranch_execnz .LBB0_1050
.LBB0_1049:                             ;   in Loop: Header=BB0_1019 Depth=2
	global_load_dwordx2 v[26:27], v3, s[0:1]
	s_add_i32 s27, s26, -8
	s_add_u32 s0, s0, 8
	s_addc_u32 s1, s1, 0
.LBB0_1050:                             ;   in Loop: Header=BB0_1019 Depth=2
	s_cmp_gt_u32 s27, 7
	s_cbranch_scc1 .LBB0_1054
; %bb.1051:                             ;   in Loop: Header=BB0_1019 Depth=2
	s_cmp_eq_u32 s27, 0
	s_cbranch_scc1 .LBB0_1055
; %bb.1052:                             ;   in Loop: Header=BB0_1019 Depth=2
	s_mov_b64 s[22:23], 0
	v_pk_mov_b32 v[28:29], 0, 0
	s_mov_b64 s[24:25], 0
.LBB0_1053:                             ;   Parent Loop BB0_873 Depth=1
                                        ;     Parent Loop BB0_1019 Depth=2
                                        ; =>    This Inner Loop Header: Depth=3
	s_add_u32 s28, s0, s24
	s_addc_u32 s29, s1, s25
	global_load_ubyte v1, v3, s[28:29]
	s_add_u32 s24, s24, 1
	s_addc_u32 s25, s25, 0
	s_waitcnt vmcnt(0)
	v_and_b32_e32 v2, 0xffff, v1
	v_lshlrev_b64 v[8:9], s22, v[2:3]
	s_add_u32 s22, s22, 8
	s_addc_u32 s23, s23, 0
	v_or_b32_e32 v28, v8, v28
	s_cmp_lg_u32 s27, s24
	v_or_b32_e32 v29, v9, v29
	s_cbranch_scc1 .LBB0_1053
	s_branch .LBB0_1056
.LBB0_1054:                             ;   in Loop: Header=BB0_1019 Depth=2
                                        ; implicit-def: $sgpr26
	s_branch .LBB0_1057
.LBB0_1055:                             ;   in Loop: Header=BB0_1019 Depth=2
	v_pk_mov_b32 v[28:29], 0, 0
.LBB0_1056:                             ;   in Loop: Header=BB0_1019 Depth=2
	s_mov_b32 s26, 0
	s_cbranch_execnz .LBB0_1058
.LBB0_1057:                             ;   in Loop: Header=BB0_1019 Depth=2
	global_load_dwordx2 v[28:29], v3, s[0:1]
	s_add_i32 s26, s27, -8
	s_add_u32 s0, s0, 8
	s_addc_u32 s1, s1, 0
.LBB0_1058:                             ;   in Loop: Header=BB0_1019 Depth=2
	s_cmp_gt_u32 s26, 7
	s_cbranch_scc1 .LBB0_1062
; %bb.1059:                             ;   in Loop: Header=BB0_1019 Depth=2
	s_cmp_eq_u32 s26, 0
	s_cbranch_scc1 .LBB0_1063
; %bb.1060:                             ;   in Loop: Header=BB0_1019 Depth=2
	s_mov_b64 s[22:23], 0
	v_pk_mov_b32 v[30:31], 0, 0
	s_mov_b64 s[24:25], 0
.LBB0_1061:                             ;   Parent Loop BB0_873 Depth=1
                                        ;     Parent Loop BB0_1019 Depth=2
                                        ; =>    This Inner Loop Header: Depth=3
	s_add_u32 s28, s0, s24
	s_addc_u32 s29, s1, s25
	global_load_ubyte v1, v3, s[28:29]
	s_add_u32 s24, s24, 1
	s_addc_u32 s25, s25, 0
	s_waitcnt vmcnt(0)
	v_and_b32_e32 v2, 0xffff, v1
	v_lshlrev_b64 v[8:9], s22, v[2:3]
	s_add_u32 s22, s22, 8
	s_addc_u32 s23, s23, 0
	v_or_b32_e32 v30, v8, v30
	s_cmp_lg_u32 s26, s24
	v_or_b32_e32 v31, v9, v31
	s_cbranch_scc1 .LBB0_1061
	s_branch .LBB0_1064
.LBB0_1062:                             ;   in Loop: Header=BB0_1019 Depth=2
                                        ; implicit-def: $vgpr30_vgpr31
                                        ; implicit-def: $sgpr27
	s_branch .LBB0_1065
.LBB0_1063:                             ;   in Loop: Header=BB0_1019 Depth=2
	v_pk_mov_b32 v[30:31], 0, 0
.LBB0_1064:                             ;   in Loop: Header=BB0_1019 Depth=2
	s_mov_b32 s27, 0
	s_cbranch_execnz .LBB0_1066
.LBB0_1065:                             ;   in Loop: Header=BB0_1019 Depth=2
	global_load_dwordx2 v[30:31], v3, s[0:1]
	s_add_i32 s27, s26, -8
	s_add_u32 s0, s0, 8
	s_addc_u32 s1, s1, 0
.LBB0_1066:                             ;   in Loop: Header=BB0_1019 Depth=2
	s_cmp_gt_u32 s27, 7
	s_cbranch_scc1 .LBB0_1070
; %bb.1067:                             ;   in Loop: Header=BB0_1019 Depth=2
	s_cmp_eq_u32 s27, 0
	s_cbranch_scc1 .LBB0_1071
; %bb.1068:                             ;   in Loop: Header=BB0_1019 Depth=2
	s_mov_b64 s[22:23], 0
	v_pk_mov_b32 v[32:33], 0, 0
	s_mov_b64 s[24:25], s[0:1]
.LBB0_1069:                             ;   Parent Loop BB0_873 Depth=1
                                        ;     Parent Loop BB0_1019 Depth=2
                                        ; =>    This Inner Loop Header: Depth=3
	global_load_ubyte v1, v3, s[24:25]
	s_add_i32 s27, s27, -1
	s_waitcnt vmcnt(0)
	v_and_b32_e32 v2, 0xffff, v1
	v_lshlrev_b64 v[8:9], s22, v[2:3]
	s_add_u32 s22, s22, 8
	s_addc_u32 s23, s23, 0
	s_add_u32 s24, s24, 1
	s_addc_u32 s25, s25, 0
	v_or_b32_e32 v32, v8, v32
	s_cmp_lg_u32 s27, 0
	v_or_b32_e32 v33, v9, v33
	s_cbranch_scc1 .LBB0_1069
	s_branch .LBB0_1072
.LBB0_1070:                             ;   in Loop: Header=BB0_1019 Depth=2
	s_branch .LBB0_1073
.LBB0_1071:                             ;   in Loop: Header=BB0_1019 Depth=2
	v_pk_mov_b32 v[32:33], 0, 0
.LBB0_1072:                             ;   in Loop: Header=BB0_1019 Depth=2
	s_cbranch_execnz .LBB0_1074
.LBB0_1073:                             ;   in Loop: Header=BB0_1019 Depth=2
	global_load_dwordx2 v[32:33], v3, s[0:1]
.LBB0_1074:                             ;   in Loop: Header=BB0_1019 Depth=2
	v_readfirstlane_b32 s0, v42
	v_cmp_eq_u32_e64 s[0:1], s0, v42
	v_pk_mov_b32 v[8:9], 0, 0
	s_and_saveexec_b64 s[22:23], s[0:1]
	s_cbranch_execz .LBB0_1080
; %bb.1075:                             ;   in Loop: Header=BB0_1019 Depth=2
	global_load_dwordx2 v[36:37], v3, s[2:3] offset:24 glc
	s_waitcnt vmcnt(0)
	buffer_invl2
	buffer_wbinvl1_vol
	global_load_dwordx2 v[8:9], v3, s[2:3] offset:40
	global_load_dwordx2 v[34:35], v3, s[2:3]
	s_waitcnt vmcnt(1)
	v_and_b32_e32 v1, v8, v36
	v_and_b32_e32 v2, v9, v37
	v_mul_lo_u32 v2, v2, 24
	v_mul_hi_u32 v8, v1, 24
	v_mul_lo_u32 v1, v1, 24
	v_add_u32_e32 v2, v8, v2
	s_waitcnt vmcnt(0)
	v_add_co_u32_e32 v8, vcc, v34, v1
	v_addc_co_u32_e32 v9, vcc, v35, v2, vcc
	global_load_dwordx2 v[34:35], v[8:9], off glc
	s_waitcnt vmcnt(0)
	global_atomic_cmpswap_x2 v[8:9], v3, v[34:37], s[2:3] offset:24 glc
	s_waitcnt vmcnt(0)
	buffer_invl2
	buffer_wbinvl1_vol
	v_cmp_ne_u64_e32 vcc, v[8:9], v[36:37]
	s_and_saveexec_b64 s[24:25], vcc
	s_cbranch_execz .LBB0_1079
; %bb.1076:                             ;   in Loop: Header=BB0_1019 Depth=2
	s_mov_b64 s[26:27], 0
.LBB0_1077:                             ;   Parent Loop BB0_873 Depth=1
                                        ;     Parent Loop BB0_1019 Depth=2
                                        ; =>    This Inner Loop Header: Depth=3
	s_sleep 1
	global_load_dwordx2 v[34:35], v3, s[2:3] offset:40
	global_load_dwordx2 v[38:39], v3, s[2:3]
	v_pk_mov_b32 v[36:37], v[8:9], v[8:9] op_sel:[0,1]
	s_waitcnt vmcnt(1)
	v_and_b32_e32 v2, v34, v36
	s_waitcnt vmcnt(0)
	v_mad_u64_u32 v[8:9], s[28:29], v2, 24, v[38:39]
	v_and_b32_e32 v1, v35, v37
	v_mov_b32_e32 v2, v9
	v_mad_u64_u32 v[34:35], s[28:29], v1, 24, v[2:3]
	v_mov_b32_e32 v9, v34
	global_load_dwordx2 v[34:35], v[8:9], off glc
	s_waitcnt vmcnt(0)
	global_atomic_cmpswap_x2 v[8:9], v3, v[34:37], s[2:3] offset:24 glc
	s_waitcnt vmcnt(0)
	buffer_invl2
	buffer_wbinvl1_vol
	v_cmp_eq_u64_e32 vcc, v[8:9], v[36:37]
	s_or_b64 s[26:27], vcc, s[26:27]
	s_andn2_b64 exec, exec, s[26:27]
	s_cbranch_execnz .LBB0_1077
; %bb.1078:                             ;   in Loop: Header=BB0_1019 Depth=2
	s_or_b64 exec, exec, s[26:27]
.LBB0_1079:                             ;   in Loop: Header=BB0_1019 Depth=2
	s_or_b64 exec, exec, s[24:25]
.LBB0_1080:                             ;   in Loop: Header=BB0_1019 Depth=2
	s_or_b64 exec, exec, s[22:23]
	global_load_dwordx2 v[38:39], v3, s[2:3] offset:40
	global_load_dwordx4 v[34:37], v3, s[2:3]
	v_readfirstlane_b32 s22, v8
	v_readfirstlane_b32 s23, v9
	s_mov_b64 s[24:25], exec
	s_waitcnt vmcnt(1)
	v_readfirstlane_b32 s26, v38
	v_readfirstlane_b32 s27, v39
	s_and_b64 s[26:27], s[22:23], s[26:27]
	s_mul_i32 s28, s27, 24
	s_mul_hi_u32 s29, s26, 24
	s_mul_i32 s33, s26, 24
	s_add_i32 s28, s29, s28
	v_mov_b32_e32 v1, s28
	s_waitcnt vmcnt(0)
	v_add_co_u32_e32 v38, vcc, s33, v34
	v_addc_co_u32_e32 v39, vcc, v35, v1, vcc
	s_and_saveexec_b64 s[28:29], s[0:1]
	s_cbranch_execz .LBB0_1082
; %bb.1081:                             ;   in Loop: Header=BB0_1019 Depth=2
	v_pk_mov_b32 v[8:9], s[24:25], s[24:25] op_sel:[0,1]
	global_store_dwordx4 v[38:39], v[8:11], off offset:8
.LBB0_1082:                             ;   in Loop: Header=BB0_1019 Depth=2
	s_or_b64 exec, exec, s[28:29]
	s_lshl_b64 s[24:25], s[26:27], 12
	v_mov_b32_e32 v1, s25
	v_add_co_u32_e32 v8, vcc, s24, v36
	v_addc_co_u32_e32 v1, vcc, v37, v1, vcc
	v_or_b32_e32 v2, 0, v19
	v_or_b32_e32 v9, v18, v0
	v_cmp_gt_u64_e64 vcc, s[18:19], 56
	s_lshl_b32 s24, s20, 2
	v_cndmask_b32_e32 v19, v2, v19, vcc
	v_cndmask_b32_e32 v2, v9, v18, vcc
	s_add_i32 s24, s24, 28
	s_and_b32 s24, s24, 0x1e0
	v_and_b32_e32 v2, 0xffffff1f, v2
	v_or_b32_e32 v18, s24, v2
	v_readfirstlane_b32 s24, v8
	v_readfirstlane_b32 s25, v1
	s_nop 4
	global_store_dwordx4 v43, v[18:21], s[24:25]
	global_store_dwordx4 v43, v[22:25], s[24:25] offset:16
	global_store_dwordx4 v43, v[26:29], s[24:25] offset:32
	;; [unrolled: 1-line block ×3, first 2 shown]
	s_and_saveexec_b64 s[24:25], s[0:1]
	s_cbranch_execz .LBB0_1090
; %bb.1083:                             ;   in Loop: Header=BB0_1019 Depth=2
	global_load_dwordx2 v[26:27], v3, s[2:3] offset:32 glc
	global_load_dwordx2 v[18:19], v3, s[2:3] offset:40
	v_mov_b32_e32 v24, s22
	v_mov_b32_e32 v25, s23
	s_waitcnt vmcnt(0)
	v_readfirstlane_b32 s26, v18
	v_readfirstlane_b32 s27, v19
	s_and_b64 s[26:27], s[26:27], s[22:23]
	s_mul_i32 s27, s27, 24
	s_mul_hi_u32 s28, s26, 24
	s_mul_i32 s26, s26, 24
	s_add_i32 s27, s28, s27
	v_mov_b32_e32 v2, s27
	v_add_co_u32_e32 v22, vcc, s26, v34
	v_addc_co_u32_e32 v23, vcc, v35, v2, vcc
	global_store_dwordx2 v[22:23], v[26:27], off
	buffer_wbl2
	s_waitcnt vmcnt(0)
	global_atomic_cmpswap_x2 v[20:21], v3, v[24:27], s[2:3] offset:32 glc
	s_waitcnt vmcnt(0)
	v_cmp_ne_u64_e32 vcc, v[20:21], v[26:27]
	s_and_saveexec_b64 s[26:27], vcc
	s_cbranch_execz .LBB0_1086
; %bb.1084:                             ;   in Loop: Header=BB0_1019 Depth=2
	s_mov_b64 s[28:29], 0
.LBB0_1085:                             ;   Parent Loop BB0_873 Depth=1
                                        ;     Parent Loop BB0_1019 Depth=2
                                        ; =>    This Inner Loop Header: Depth=3
	s_sleep 1
	global_store_dwordx2 v[22:23], v[20:21], off
	v_mov_b32_e32 v18, s22
	v_mov_b32_e32 v19, s23
	buffer_wbl2
	s_waitcnt vmcnt(0)
	global_atomic_cmpswap_x2 v[18:19], v3, v[18:21], s[2:3] offset:32 glc
	s_waitcnt vmcnt(0)
	v_cmp_eq_u64_e32 vcc, v[18:19], v[20:21]
	s_or_b64 s[28:29], vcc, s[28:29]
	v_pk_mov_b32 v[20:21], v[18:19], v[18:19] op_sel:[0,1]
	s_andn2_b64 exec, exec, s[28:29]
	s_cbranch_execnz .LBB0_1085
.LBB0_1086:                             ;   in Loop: Header=BB0_1019 Depth=2
	s_or_b64 exec, exec, s[26:27]
	global_load_dwordx2 v[18:19], v3, s[2:3] offset:16
	s_mov_b64 s[28:29], exec
	v_mbcnt_lo_u32_b32 v2, s28, 0
	v_mbcnt_hi_u32_b32 v2, s29, v2
	v_cmp_eq_u32_e32 vcc, 0, v2
	s_and_saveexec_b64 s[26:27], vcc
	s_cbranch_execz .LBB0_1088
; %bb.1087:                             ;   in Loop: Header=BB0_1019 Depth=2
	s_bcnt1_i32_b64 s28, s[28:29]
	v_mov_b32_e32 v2, s28
	buffer_wbl2
	s_waitcnt vmcnt(0)
	global_atomic_add_x2 v[18:19], v[2:3], off offset:8
.LBB0_1088:                             ;   in Loop: Header=BB0_1019 Depth=2
	s_or_b64 exec, exec, s[26:27]
	s_waitcnt vmcnt(0)
	global_load_dwordx2 v[20:21], v[18:19], off offset:16
	s_waitcnt vmcnt(0)
	v_cmp_eq_u64_e32 vcc, 0, v[20:21]
	s_cbranch_vccnz .LBB0_1090
; %bb.1089:                             ;   in Loop: Header=BB0_1019 Depth=2
	global_load_dword v2, v[18:19], off offset:24
	buffer_wbl2
	s_waitcnt vmcnt(0)
	global_store_dwordx2 v[20:21], v[2:3], off
	v_and_b32_e32 v2, 0xffffff, v2
	v_readfirstlane_b32 m0, v2
	s_sendmsg sendmsg(MSG_INTERRUPT)
.LBB0_1090:                             ;   in Loop: Header=BB0_1019 Depth=2
	s_or_b64 exec, exec, s[24:25]
	v_add_co_u32_e32 v8, vcc, v8, v43
	v_addc_co_u32_e32 v9, vcc, 0, v1, vcc
	s_branch .LBB0_1094
.LBB0_1091:                             ;   in Loop: Header=BB0_1094 Depth=3
	s_or_b64 exec, exec, s[24:25]
	v_readfirstlane_b32 s24, v1
	s_cmp_eq_u32 s24, 0
	s_cbranch_scc1 .LBB0_1093
; %bb.1092:                             ;   in Loop: Header=BB0_1094 Depth=3
	s_sleep 1
	s_cbranch_execnz .LBB0_1094
	s_branch .LBB0_1096
.LBB0_1093:                             ;   in Loop: Header=BB0_1019 Depth=2
	s_branch .LBB0_1096
.LBB0_1094:                             ;   Parent Loop BB0_873 Depth=1
                                        ;     Parent Loop BB0_1019 Depth=2
                                        ; =>    This Inner Loop Header: Depth=3
	v_mov_b32_e32 v1, 1
	s_and_saveexec_b64 s[24:25], s[0:1]
	s_cbranch_execz .LBB0_1091
; %bb.1095:                             ;   in Loop: Header=BB0_1094 Depth=3
	global_load_dword v1, v[38:39], off offset:20 glc
	s_waitcnt vmcnt(0)
	buffer_invl2
	buffer_wbinvl1_vol
	v_and_b32_e32 v1, 1, v1
	s_branch .LBB0_1091
.LBB0_1096:                             ;   in Loop: Header=BB0_1019 Depth=2
	global_load_dwordx4 v[18:21], v[8:9], off
	s_and_saveexec_b64 s[24:25], s[0:1]
	s_cbranch_execz .LBB0_1018
; %bb.1097:                             ;   in Loop: Header=BB0_1019 Depth=2
	global_load_dwordx2 v[8:9], v3, s[2:3] offset:40
	global_load_dwordx2 v[24:25], v3, s[2:3] offset:24 glc
	global_load_dwordx2 v[26:27], v3, s[2:3]
	v_mov_b32_e32 v1, s23
	s_waitcnt vmcnt(2)
	v_add_co_u32_e32 v2, vcc, 1, v8
	v_addc_co_u32_e32 v23, vcc, 0, v9, vcc
	v_add_co_u32_e32 v20, vcc, s22, v2
	v_addc_co_u32_e32 v21, vcc, v23, v1, vcc
	v_cmp_eq_u64_e32 vcc, 0, v[20:21]
	v_cndmask_b32_e32 v21, v21, v23, vcc
	v_cndmask_b32_e32 v20, v20, v2, vcc
	v_and_b32_e32 v1, v21, v9
	v_and_b32_e32 v2, v20, v8
	v_mul_lo_u32 v1, v1, 24
	v_mul_hi_u32 v8, v2, 24
	v_mul_lo_u32 v2, v2, 24
	v_add_u32_e32 v1, v8, v1
	s_waitcnt vmcnt(0)
	v_add_co_u32_e32 v8, vcc, v26, v2
	v_addc_co_u32_e32 v9, vcc, v27, v1, vcc
	v_mov_b32_e32 v22, v24
	global_store_dwordx2 v[8:9], v[24:25], off
	v_mov_b32_e32 v23, v25
	buffer_wbl2
	s_waitcnt vmcnt(0)
	global_atomic_cmpswap_x2 v[22:23], v3, v[20:23], s[2:3] offset:24 glc
	s_waitcnt vmcnt(0)
	v_cmp_ne_u64_e32 vcc, v[22:23], v[24:25]
	s_and_b64 exec, exec, vcc
	s_cbranch_execz .LBB0_1018
; %bb.1098:                             ;   in Loop: Header=BB0_1019 Depth=2
	s_mov_b64 s[0:1], 0
.LBB0_1099:                             ;   Parent Loop BB0_873 Depth=1
                                        ;     Parent Loop BB0_1019 Depth=2
                                        ; =>    This Inner Loop Header: Depth=3
	s_sleep 1
	global_store_dwordx2 v[8:9], v[22:23], off
	buffer_wbl2
	s_waitcnt vmcnt(0)
	global_atomic_cmpswap_x2 v[24:25], v3, v[20:23], s[2:3] offset:24 glc
	s_waitcnt vmcnt(0)
	v_cmp_eq_u64_e32 vcc, v[24:25], v[22:23]
	s_or_b64 s[0:1], vcc, s[0:1]
	v_pk_mov_b32 v[22:23], v[24:25], v[24:25] op_sel:[0,1]
	s_andn2_b64 exec, exec, s[0:1]
	s_cbranch_execnz .LBB0_1099
	s_branch .LBB0_1018
.LBB0_1100:                             ;   in Loop: Header=BB0_873 Depth=1
	s_branch .LBB0_1129
.LBB0_1101:                             ;   in Loop: Header=BB0_873 Depth=1
                                        ; implicit-def: $vgpr18_vgpr19
	s_cbranch_execz .LBB0_1129
; %bb.1102:                             ;   in Loop: Header=BB0_873 Depth=1
	v_readfirstlane_b32 s0, v42
	v_cmp_eq_u32_e64 s[0:1], s0, v42
	s_waitcnt vmcnt(0)
	v_pk_mov_b32 v[0:1], 0, 0
	s_and_saveexec_b64 s[14:15], s[0:1]
	s_cbranch_execz .LBB0_1108
; %bb.1103:                             ;   in Loop: Header=BB0_873 Depth=1
	global_load_dwordx2 v[20:21], v3, s[2:3] offset:24 glc
	s_waitcnt vmcnt(0)
	buffer_invl2
	buffer_wbinvl1_vol
	global_load_dwordx2 v[0:1], v3, s[2:3] offset:40
	global_load_dwordx2 v[8:9], v3, s[2:3]
	s_waitcnt vmcnt(1)
	v_and_b32_e32 v0, v0, v20
	v_and_b32_e32 v1, v1, v21
	v_mul_lo_u32 v1, v1, 24
	v_mul_hi_u32 v2, v0, 24
	v_mul_lo_u32 v0, v0, 24
	v_add_u32_e32 v1, v2, v1
	s_waitcnt vmcnt(0)
	v_add_co_u32_e32 v0, vcc, v8, v0
	v_addc_co_u32_e32 v1, vcc, v9, v1, vcc
	global_load_dwordx2 v[18:19], v[0:1], off glc
	s_waitcnt vmcnt(0)
	global_atomic_cmpswap_x2 v[0:1], v3, v[18:21], s[2:3] offset:24 glc
	s_waitcnt vmcnt(0)
	buffer_invl2
	buffer_wbinvl1_vol
	v_cmp_ne_u64_e32 vcc, v[0:1], v[20:21]
	s_and_saveexec_b64 s[18:19], vcc
	s_cbranch_execz .LBB0_1107
; %bb.1104:                             ;   in Loop: Header=BB0_873 Depth=1
	s_mov_b64 s[20:21], 0
.LBB0_1105:                             ;   Parent Loop BB0_873 Depth=1
                                        ; =>  This Inner Loop Header: Depth=2
	s_sleep 1
	global_load_dwordx2 v[8:9], v3, s[2:3] offset:40
	global_load_dwordx2 v[18:19], v3, s[2:3]
	v_pk_mov_b32 v[20:21], v[0:1], v[0:1] op_sel:[0,1]
	s_waitcnt vmcnt(1)
	v_and_b32_e32 v0, v8, v20
	s_waitcnt vmcnt(0)
	v_mad_u64_u32 v[0:1], s[22:23], v0, 24, v[18:19]
	v_and_b32_e32 v9, v9, v21
	v_mov_b32_e32 v2, v1
	v_mad_u64_u32 v[8:9], s[22:23], v9, 24, v[2:3]
	v_mov_b32_e32 v1, v8
	global_load_dwordx2 v[18:19], v[0:1], off glc
	s_waitcnt vmcnt(0)
	global_atomic_cmpswap_x2 v[0:1], v3, v[18:21], s[2:3] offset:24 glc
	s_waitcnt vmcnt(0)
	buffer_invl2
	buffer_wbinvl1_vol
	v_cmp_eq_u64_e32 vcc, v[0:1], v[20:21]
	s_or_b64 s[20:21], vcc, s[20:21]
	s_andn2_b64 exec, exec, s[20:21]
	s_cbranch_execnz .LBB0_1105
; %bb.1106:                             ;   in Loop: Header=BB0_873 Depth=1
	s_or_b64 exec, exec, s[20:21]
.LBB0_1107:                             ;   in Loop: Header=BB0_873 Depth=1
	s_or_b64 exec, exec, s[18:19]
.LBB0_1108:                             ;   in Loop: Header=BB0_873 Depth=1
	s_or_b64 exec, exec, s[14:15]
	global_load_dwordx2 v[8:9], v3, s[2:3] offset:40
	global_load_dwordx4 v[20:23], v3, s[2:3]
	v_readfirstlane_b32 s14, v0
	v_readfirstlane_b32 s15, v1
	s_mov_b64 s[18:19], exec
	s_waitcnt vmcnt(1)
	v_readfirstlane_b32 s20, v8
	v_readfirstlane_b32 s21, v9
	s_and_b64 s[20:21], s[14:15], s[20:21]
	s_mul_i32 s22, s21, 24
	s_mul_hi_u32 s23, s20, 24
	s_mul_i32 s24, s20, 24
	s_add_i32 s22, s23, s22
	v_mov_b32_e32 v1, s22
	s_waitcnt vmcnt(0)
	v_add_co_u32_e32 v0, vcc, s24, v20
	v_addc_co_u32_e32 v1, vcc, v21, v1, vcc
	s_and_saveexec_b64 s[22:23], s[0:1]
	s_cbranch_execz .LBB0_1110
; %bb.1109:                             ;   in Loop: Header=BB0_873 Depth=1
	v_pk_mov_b32 v[8:9], s[18:19], s[18:19] op_sel:[0,1]
	global_store_dwordx4 v[0:1], v[8:11], off offset:8
.LBB0_1110:                             ;   in Loop: Header=BB0_873 Depth=1
	s_or_b64 exec, exec, s[22:23]
	s_lshl_b64 s[18:19], s[20:21], 12
	v_mov_b32_e32 v2, s19
	v_add_co_u32_e32 v8, vcc, s18, v22
	v_addc_co_u32_e32 v9, vcc, v23, v2, vcc
	v_and_or_b32 v16, v16, s8, 32
	v_mov_b32_e32 v18, v3
	v_mov_b32_e32 v19, v3
	v_readfirstlane_b32 s18, v8
	v_readfirstlane_b32 s19, v9
	s_nop 4
	global_store_dwordx4 v43, v[16:19], s[18:19]
	s_nop 0
	v_pk_mov_b32 v[18:19], s[6:7], s[6:7] op_sel:[0,1]
	v_pk_mov_b32 v[16:17], s[4:5], s[4:5] op_sel:[0,1]
	global_store_dwordx4 v43, v[16:19], s[18:19] offset:16
	global_store_dwordx4 v43, v[16:19], s[18:19] offset:32
	;; [unrolled: 1-line block ×3, first 2 shown]
	s_and_saveexec_b64 s[18:19], s[0:1]
	s_cbranch_execz .LBB0_1118
; %bb.1111:                             ;   in Loop: Header=BB0_873 Depth=1
	global_load_dwordx2 v[24:25], v3, s[2:3] offset:32 glc
	global_load_dwordx2 v[16:17], v3, s[2:3] offset:40
	v_mov_b32_e32 v22, s14
	v_mov_b32_e32 v23, s15
	s_waitcnt vmcnt(0)
	v_readfirstlane_b32 s20, v16
	v_readfirstlane_b32 s21, v17
	s_and_b64 s[20:21], s[20:21], s[14:15]
	s_mul_i32 s21, s21, 24
	s_mul_hi_u32 s22, s20, 24
	s_mul_i32 s20, s20, 24
	s_add_i32 s21, s22, s21
	v_mov_b32_e32 v2, s21
	v_add_co_u32_e32 v20, vcc, s20, v20
	v_addc_co_u32_e32 v21, vcc, v21, v2, vcc
	global_store_dwordx2 v[20:21], v[24:25], off
	buffer_wbl2
	s_waitcnt vmcnt(0)
	global_atomic_cmpswap_x2 v[18:19], v3, v[22:25], s[2:3] offset:32 glc
	s_waitcnt vmcnt(0)
	v_cmp_ne_u64_e32 vcc, v[18:19], v[24:25]
	s_and_saveexec_b64 s[20:21], vcc
	s_cbranch_execz .LBB0_1114
; %bb.1112:                             ;   in Loop: Header=BB0_873 Depth=1
	s_mov_b64 s[22:23], 0
.LBB0_1113:                             ;   Parent Loop BB0_873 Depth=1
                                        ; =>  This Inner Loop Header: Depth=2
	s_sleep 1
	global_store_dwordx2 v[20:21], v[18:19], off
	v_mov_b32_e32 v16, s14
	v_mov_b32_e32 v17, s15
	buffer_wbl2
	s_waitcnt vmcnt(0)
	global_atomic_cmpswap_x2 v[16:17], v3, v[16:19], s[2:3] offset:32 glc
	s_waitcnt vmcnt(0)
	v_cmp_eq_u64_e32 vcc, v[16:17], v[18:19]
	s_or_b64 s[22:23], vcc, s[22:23]
	v_pk_mov_b32 v[18:19], v[16:17], v[16:17] op_sel:[0,1]
	s_andn2_b64 exec, exec, s[22:23]
	s_cbranch_execnz .LBB0_1113
.LBB0_1114:                             ;   in Loop: Header=BB0_873 Depth=1
	s_or_b64 exec, exec, s[20:21]
	global_load_dwordx2 v[16:17], v3, s[2:3] offset:16
	s_mov_b64 s[22:23], exec
	v_mbcnt_lo_u32_b32 v2, s22, 0
	v_mbcnt_hi_u32_b32 v2, s23, v2
	v_cmp_eq_u32_e32 vcc, 0, v2
	s_and_saveexec_b64 s[20:21], vcc
	s_cbranch_execz .LBB0_1116
; %bb.1115:                             ;   in Loop: Header=BB0_873 Depth=1
	s_bcnt1_i32_b64 s22, s[22:23]
	v_mov_b32_e32 v2, s22
	buffer_wbl2
	s_waitcnt vmcnt(0)
	global_atomic_add_x2 v[16:17], v[2:3], off offset:8
.LBB0_1116:                             ;   in Loop: Header=BB0_873 Depth=1
	s_or_b64 exec, exec, s[20:21]
	s_waitcnt vmcnt(0)
	global_load_dwordx2 v[18:19], v[16:17], off offset:16
	s_waitcnt vmcnt(0)
	v_cmp_eq_u64_e32 vcc, 0, v[18:19]
	s_cbranch_vccnz .LBB0_1118
; %bb.1117:                             ;   in Loop: Header=BB0_873 Depth=1
	global_load_dword v2, v[16:17], off offset:24
	buffer_wbl2
	s_waitcnt vmcnt(0)
	global_store_dwordx2 v[18:19], v[2:3], off
	v_and_b32_e32 v2, 0xffffff, v2
	v_readfirstlane_b32 m0, v2
	s_sendmsg sendmsg(MSG_INTERRUPT)
.LBB0_1118:                             ;   in Loop: Header=BB0_873 Depth=1
	s_or_b64 exec, exec, s[18:19]
	v_add_co_u32_e32 v8, vcc, v8, v43
	v_addc_co_u32_e32 v9, vcc, 0, v9, vcc
	s_branch .LBB0_1122
.LBB0_1119:                             ;   in Loop: Header=BB0_1122 Depth=2
	s_or_b64 exec, exec, s[18:19]
	v_readfirstlane_b32 s18, v2
	s_cmp_eq_u32 s18, 0
	s_cbranch_scc1 .LBB0_1121
; %bb.1120:                             ;   in Loop: Header=BB0_1122 Depth=2
	s_sleep 1
	s_cbranch_execnz .LBB0_1122
	s_branch .LBB0_1124
.LBB0_1121:                             ;   in Loop: Header=BB0_873 Depth=1
	s_branch .LBB0_1124
.LBB0_1122:                             ;   Parent Loop BB0_873 Depth=1
                                        ; =>  This Inner Loop Header: Depth=2
	v_mov_b32_e32 v2, 1
	s_and_saveexec_b64 s[18:19], s[0:1]
	s_cbranch_execz .LBB0_1119
; %bb.1123:                             ;   in Loop: Header=BB0_1122 Depth=2
	global_load_dword v2, v[0:1], off offset:20 glc
	s_waitcnt vmcnt(0)
	buffer_invl2
	buffer_wbinvl1_vol
	v_and_b32_e32 v2, 1, v2
	s_branch .LBB0_1119
.LBB0_1124:                             ;   in Loop: Header=BB0_873 Depth=1
	global_load_dwordx2 v[18:19], v[8:9], off
	s_and_saveexec_b64 s[18:19], s[0:1]
	s_cbranch_execz .LBB0_1128
; %bb.1125:                             ;   in Loop: Header=BB0_873 Depth=1
	global_load_dwordx2 v[0:1], v3, s[2:3] offset:40
	global_load_dwordx2 v[8:9], v3, s[2:3] offset:24 glc
	global_load_dwordx2 v[16:17], v3, s[2:3]
	v_mov_b32_e32 v2, s15
	s_waitcnt vmcnt(2)
	v_add_co_u32_e32 v23, vcc, 1, v0
	v_addc_co_u32_e32 v24, vcc, 0, v1, vcc
	v_add_co_u32_e32 v20, vcc, s14, v23
	v_addc_co_u32_e32 v21, vcc, v24, v2, vcc
	v_cmp_eq_u64_e32 vcc, 0, v[20:21]
	v_cndmask_b32_e32 v21, v21, v24, vcc
	v_cndmask_b32_e32 v20, v20, v23, vcc
	v_and_b32_e32 v1, v21, v1
	v_and_b32_e32 v0, v20, v0
	v_mul_lo_u32 v1, v1, 24
	v_mul_hi_u32 v2, v0, 24
	v_mul_lo_u32 v0, v0, 24
	v_add_u32_e32 v1, v2, v1
	s_waitcnt vmcnt(0)
	v_add_co_u32_e32 v0, vcc, v16, v0
	v_addc_co_u32_e32 v1, vcc, v17, v1, vcc
	v_mov_b32_e32 v22, v8
	global_store_dwordx2 v[0:1], v[8:9], off
	v_mov_b32_e32 v23, v9
	buffer_wbl2
	s_waitcnt vmcnt(0)
	global_atomic_cmpswap_x2 v[22:23], v3, v[20:23], s[2:3] offset:24 glc
	s_waitcnt vmcnt(0)
	v_cmp_ne_u64_e32 vcc, v[22:23], v[8:9]
	s_and_b64 exec, exec, vcc
	s_cbranch_execz .LBB0_1128
; %bb.1126:                             ;   in Loop: Header=BB0_873 Depth=1
	s_mov_b64 s[0:1], 0
.LBB0_1127:                             ;   Parent Loop BB0_873 Depth=1
                                        ; =>  This Inner Loop Header: Depth=2
	s_sleep 1
	global_store_dwordx2 v[0:1], v[22:23], off
	buffer_wbl2
	s_waitcnt vmcnt(0)
	global_atomic_cmpswap_x2 v[8:9], v3, v[20:23], s[2:3] offset:24 glc
	s_waitcnt vmcnt(0)
	v_cmp_eq_u64_e32 vcc, v[8:9], v[22:23]
	s_or_b64 s[0:1], vcc, s[0:1]
	v_pk_mov_b32 v[22:23], v[8:9], v[8:9] op_sel:[0,1]
	s_andn2_b64 exec, exec, s[0:1]
	s_cbranch_execnz .LBB0_1127
.LBB0_1128:                             ;   in Loop: Header=BB0_873 Depth=1
	s_or_b64 exec, exec, s[18:19]
.LBB0_1129:                             ;   in Loop: Header=BB0_873 Depth=1
	v_readfirstlane_b32 s0, v42
	v_cmp_eq_u32_e64 s[0:1], s0, v42
	s_waitcnt vmcnt(0)
	v_pk_mov_b32 v[0:1], 0, 0
	s_and_saveexec_b64 s[14:15], s[0:1]
	s_cbranch_execz .LBB0_1135
; %bb.1130:                             ;   in Loop: Header=BB0_873 Depth=1
	global_load_dwordx2 v[22:23], v3, s[2:3] offset:24 glc
	s_waitcnt vmcnt(0)
	buffer_invl2
	buffer_wbinvl1_vol
	global_load_dwordx2 v[0:1], v3, s[2:3] offset:40
	global_load_dwordx2 v[8:9], v3, s[2:3]
	s_waitcnt vmcnt(1)
	v_and_b32_e32 v0, v0, v22
	v_and_b32_e32 v1, v1, v23
	v_mul_lo_u32 v1, v1, 24
	v_mul_hi_u32 v2, v0, 24
	v_mul_lo_u32 v0, v0, 24
	v_add_u32_e32 v1, v2, v1
	s_waitcnt vmcnt(0)
	v_add_co_u32_e32 v0, vcc, v8, v0
	v_addc_co_u32_e32 v1, vcc, v9, v1, vcc
	global_load_dwordx2 v[20:21], v[0:1], off glc
	s_waitcnt vmcnt(0)
	global_atomic_cmpswap_x2 v[0:1], v3, v[20:23], s[2:3] offset:24 glc
	s_waitcnt vmcnt(0)
	buffer_invl2
	buffer_wbinvl1_vol
	v_cmp_ne_u64_e32 vcc, v[0:1], v[22:23]
	s_and_saveexec_b64 s[18:19], vcc
	s_cbranch_execz .LBB0_1134
; %bb.1131:                             ;   in Loop: Header=BB0_873 Depth=1
	s_mov_b64 s[20:21], 0
.LBB0_1132:                             ;   Parent Loop BB0_873 Depth=1
                                        ; =>  This Inner Loop Header: Depth=2
	s_sleep 1
	global_load_dwordx2 v[8:9], v3, s[2:3] offset:40
	global_load_dwordx2 v[16:17], v3, s[2:3]
	v_pk_mov_b32 v[22:23], v[0:1], v[0:1] op_sel:[0,1]
	s_waitcnt vmcnt(1)
	v_and_b32_e32 v0, v8, v22
	s_waitcnt vmcnt(0)
	v_mad_u64_u32 v[0:1], s[22:23], v0, 24, v[16:17]
	v_and_b32_e32 v9, v9, v23
	v_mov_b32_e32 v2, v1
	v_mad_u64_u32 v[8:9], s[22:23], v9, 24, v[2:3]
	v_mov_b32_e32 v1, v8
	global_load_dwordx2 v[20:21], v[0:1], off glc
	s_waitcnt vmcnt(0)
	global_atomic_cmpswap_x2 v[0:1], v3, v[20:23], s[2:3] offset:24 glc
	s_waitcnt vmcnt(0)
	buffer_invl2
	buffer_wbinvl1_vol
	v_cmp_eq_u64_e32 vcc, v[0:1], v[22:23]
	s_or_b64 s[20:21], vcc, s[20:21]
	s_andn2_b64 exec, exec, s[20:21]
	s_cbranch_execnz .LBB0_1132
; %bb.1133:                             ;   in Loop: Header=BB0_873 Depth=1
	s_or_b64 exec, exec, s[20:21]
.LBB0_1134:                             ;   in Loop: Header=BB0_873 Depth=1
	s_or_b64 exec, exec, s[18:19]
.LBB0_1135:                             ;   in Loop: Header=BB0_873 Depth=1
	s_or_b64 exec, exec, s[14:15]
	global_load_dwordx2 v[8:9], v3, s[2:3] offset:40
	global_load_dwordx4 v[22:25], v3, s[2:3]
	v_readfirstlane_b32 s14, v0
	v_readfirstlane_b32 s15, v1
	s_mov_b64 s[18:19], exec
	s_waitcnt vmcnt(1)
	v_readfirstlane_b32 s20, v8
	v_readfirstlane_b32 s21, v9
	s_and_b64 s[20:21], s[14:15], s[20:21]
	s_mul_i32 s22, s21, 24
	s_mul_hi_u32 s23, s20, 24
	s_mul_i32 s24, s20, 24
	s_add_i32 s22, s23, s22
	v_mov_b32_e32 v1, s22
	s_waitcnt vmcnt(0)
	v_add_co_u32_e32 v0, vcc, s24, v22
	v_addc_co_u32_e32 v1, vcc, v23, v1, vcc
	s_and_saveexec_b64 s[22:23], s[0:1]
	s_cbranch_execz .LBB0_1137
; %bb.1136:                             ;   in Loop: Header=BB0_873 Depth=1
	v_pk_mov_b32 v[8:9], s[18:19], s[18:19] op_sel:[0,1]
	global_store_dwordx4 v[0:1], v[8:11], off offset:8
.LBB0_1137:                             ;   in Loop: Header=BB0_873 Depth=1
	s_or_b64 exec, exec, s[22:23]
	s_lshl_b64 s[18:19], s[20:21], 12
	v_mov_b32_e32 v8, s19
	v_add_co_u32_e32 v2, vcc, s18, v24
	v_addc_co_u32_e32 v9, vcc, v25, v8, vcc
	s_ashr_i32 s18, s31, 1
	v_and_or_b32 v18, v18, s30, 34
	v_mov_b32_e32 v20, s18
	v_mov_b32_e32 v21, v3
	v_readfirstlane_b32 s18, v2
	v_readfirstlane_b32 s19, v9
	s_nop 4
	global_store_dwordx4 v43, v[18:21], s[18:19]
	s_nop 0
	v_pk_mov_b32 v[18:19], s[6:7], s[6:7] op_sel:[0,1]
	v_pk_mov_b32 v[16:17], s[4:5], s[4:5] op_sel:[0,1]
	global_store_dwordx4 v43, v[16:19], s[18:19] offset:16
	global_store_dwordx4 v43, v[16:19], s[18:19] offset:32
	;; [unrolled: 1-line block ×3, first 2 shown]
	s_and_saveexec_b64 s[18:19], s[0:1]
	s_cbranch_execz .LBB0_1145
; %bb.1138:                             ;   in Loop: Header=BB0_873 Depth=1
	global_load_dwordx2 v[20:21], v3, s[2:3] offset:32 glc
	global_load_dwordx2 v[8:9], v3, s[2:3] offset:40
	v_mov_b32_e32 v18, s14
	v_mov_b32_e32 v19, s15
	s_waitcnt vmcnt(0)
	v_readfirstlane_b32 s20, v8
	v_readfirstlane_b32 s21, v9
	s_and_b64 s[20:21], s[20:21], s[14:15]
	s_mul_i32 s21, s21, 24
	s_mul_hi_u32 s22, s20, 24
	s_mul_i32 s20, s20, 24
	s_add_i32 s21, s22, s21
	v_mov_b32_e32 v2, s21
	v_add_co_u32_e32 v8, vcc, s20, v22
	v_addc_co_u32_e32 v9, vcc, v23, v2, vcc
	global_store_dwordx2 v[8:9], v[20:21], off
	buffer_wbl2
	s_waitcnt vmcnt(0)
	global_atomic_cmpswap_x2 v[18:19], v3, v[18:21], s[2:3] offset:32 glc
	s_waitcnt vmcnt(0)
	v_cmp_ne_u64_e32 vcc, v[18:19], v[20:21]
	s_and_saveexec_b64 s[20:21], vcc
	s_cbranch_execz .LBB0_1141
; %bb.1139:                             ;   in Loop: Header=BB0_873 Depth=1
	s_mov_b64 s[22:23], 0
.LBB0_1140:                             ;   Parent Loop BB0_873 Depth=1
                                        ; =>  This Inner Loop Header: Depth=2
	s_sleep 1
	global_store_dwordx2 v[8:9], v[18:19], off
	v_mov_b32_e32 v16, s14
	v_mov_b32_e32 v17, s15
	buffer_wbl2
	s_waitcnt vmcnt(0)
	global_atomic_cmpswap_x2 v[16:17], v3, v[16:19], s[2:3] offset:32 glc
	s_waitcnt vmcnt(0)
	v_cmp_eq_u64_e32 vcc, v[16:17], v[18:19]
	s_or_b64 s[22:23], vcc, s[22:23]
	v_pk_mov_b32 v[18:19], v[16:17], v[16:17] op_sel:[0,1]
	s_andn2_b64 exec, exec, s[22:23]
	s_cbranch_execnz .LBB0_1140
.LBB0_1141:                             ;   in Loop: Header=BB0_873 Depth=1
	s_or_b64 exec, exec, s[20:21]
	global_load_dwordx2 v[8:9], v3, s[2:3] offset:16
	s_mov_b64 s[22:23], exec
	v_mbcnt_lo_u32_b32 v2, s22, 0
	v_mbcnt_hi_u32_b32 v2, s23, v2
	v_cmp_eq_u32_e32 vcc, 0, v2
	s_and_saveexec_b64 s[20:21], vcc
	s_cbranch_execz .LBB0_1143
; %bb.1142:                             ;   in Loop: Header=BB0_873 Depth=1
	s_bcnt1_i32_b64 s22, s[22:23]
	v_mov_b32_e32 v2, s22
	buffer_wbl2
	s_waitcnt vmcnt(0)
	global_atomic_add_x2 v[8:9], v[2:3], off offset:8
.LBB0_1143:                             ;   in Loop: Header=BB0_873 Depth=1
	s_or_b64 exec, exec, s[20:21]
	s_waitcnt vmcnt(0)
	global_load_dwordx2 v[16:17], v[8:9], off offset:16
	s_waitcnt vmcnt(0)
	v_cmp_eq_u64_e32 vcc, 0, v[16:17]
	s_cbranch_vccnz .LBB0_1145
; %bb.1144:                             ;   in Loop: Header=BB0_873 Depth=1
	global_load_dword v2, v[8:9], off offset:24
	buffer_wbl2
	s_waitcnt vmcnt(0)
	global_store_dwordx2 v[16:17], v[2:3], off
	v_and_b32_e32 v2, 0xffffff, v2
	v_readfirstlane_b32 m0, v2
	s_sendmsg sendmsg(MSG_INTERRUPT)
.LBB0_1145:                             ;   in Loop: Header=BB0_873 Depth=1
	s_or_b64 exec, exec, s[18:19]
	s_branch .LBB0_1149
.LBB0_1146:                             ;   in Loop: Header=BB0_1149 Depth=2
	s_or_b64 exec, exec, s[18:19]
	v_readfirstlane_b32 s18, v2
	s_cmp_eq_u32 s18, 0
	s_cbranch_scc1 .LBB0_1148
; %bb.1147:                             ;   in Loop: Header=BB0_1149 Depth=2
	s_sleep 1
	s_cbranch_execnz .LBB0_1149
	s_branch .LBB0_1151
.LBB0_1148:                             ;   in Loop: Header=BB0_873 Depth=1
	s_branch .LBB0_1151
.LBB0_1149:                             ;   Parent Loop BB0_873 Depth=1
                                        ; =>  This Inner Loop Header: Depth=2
	v_mov_b32_e32 v2, 1
	s_and_saveexec_b64 s[18:19], s[0:1]
	s_cbranch_execz .LBB0_1146
; %bb.1150:                             ;   in Loop: Header=BB0_1149 Depth=2
	global_load_dword v2, v[0:1], off offset:20 glc
	s_waitcnt vmcnt(0)
	buffer_invl2
	buffer_wbinvl1_vol
	v_and_b32_e32 v2, 1, v2
	s_branch .LBB0_1146
.LBB0_1151:                             ;   in Loop: Header=BB0_873 Depth=1
	s_and_saveexec_b64 s[18:19], s[0:1]
	s_cbranch_execz .LBB0_872
; %bb.1152:                             ;   in Loop: Header=BB0_873 Depth=1
	global_load_dwordx2 v[0:1], v3, s[2:3] offset:40
	global_load_dwordx2 v[8:9], v3, s[2:3] offset:24 glc
	global_load_dwordx2 v[20:21], v3, s[2:3]
	v_mov_b32_e32 v2, s15
	s_waitcnt vmcnt(2)
	v_add_co_u32_e32 v19, vcc, 1, v0
	v_addc_co_u32_e32 v22, vcc, 0, v1, vcc
	v_add_co_u32_e32 v16, vcc, s14, v19
	v_addc_co_u32_e32 v17, vcc, v22, v2, vcc
	v_cmp_eq_u64_e32 vcc, 0, v[16:17]
	v_cndmask_b32_e32 v17, v17, v22, vcc
	v_cndmask_b32_e32 v16, v16, v19, vcc
	v_and_b32_e32 v1, v17, v1
	v_and_b32_e32 v0, v16, v0
	v_mul_lo_u32 v1, v1, 24
	v_mul_hi_u32 v2, v0, 24
	v_mul_lo_u32 v0, v0, 24
	v_add_u32_e32 v1, v2, v1
	s_waitcnt vmcnt(0)
	v_add_co_u32_e32 v0, vcc, v20, v0
	v_addc_co_u32_e32 v1, vcc, v21, v1, vcc
	v_mov_b32_e32 v18, v8
	global_store_dwordx2 v[0:1], v[8:9], off
	v_mov_b32_e32 v19, v9
	buffer_wbl2
	s_waitcnt vmcnt(0)
	global_atomic_cmpswap_x2 v[18:19], v3, v[16:19], s[2:3] offset:24 glc
	s_waitcnt vmcnt(0)
	v_cmp_ne_u64_e32 vcc, v[18:19], v[8:9]
	s_and_b64 exec, exec, vcc
	s_cbranch_execz .LBB0_872
; %bb.1153:                             ;   in Loop: Header=BB0_873 Depth=1
	s_mov_b64 s[0:1], 0
.LBB0_1154:                             ;   Parent Loop BB0_873 Depth=1
                                        ; =>  This Inner Loop Header: Depth=2
	s_sleep 1
	global_store_dwordx2 v[0:1], v[18:19], off
	buffer_wbl2
	s_waitcnt vmcnt(0)
	global_atomic_cmpswap_x2 v[8:9], v3, v[16:19], s[2:3] offset:24 glc
	s_waitcnt vmcnt(0)
	v_cmp_eq_u64_e32 vcc, v[8:9], v[18:19]
	s_or_b64 s[0:1], vcc, s[0:1]
	v_pk_mov_b32 v[18:19], v[8:9], v[8:9] op_sel:[0,1]
	s_andn2_b64 exec, exec, s[0:1]
	s_cbranch_execnz .LBB0_1154
	s_branch .LBB0_872
.LBB0_1155:
	s_endpgm
	.section	.rodata,"a",@progbits
	.p2align	6, 0x0
	.amdhsa_kernel _Z9printAIGAPKiS0_S0_iii
		.amdhsa_group_segment_fixed_size 0
		.amdhsa_private_segment_fixed_size 0
		.amdhsa_kernarg_size 296
		.amdhsa_user_sgpr_count 6
		.amdhsa_user_sgpr_private_segment_buffer 1
		.amdhsa_user_sgpr_dispatch_ptr 0
		.amdhsa_user_sgpr_queue_ptr 0
		.amdhsa_user_sgpr_kernarg_segment_ptr 1
		.amdhsa_user_sgpr_dispatch_id 0
		.amdhsa_user_sgpr_flat_scratch_init 0
		.amdhsa_user_sgpr_kernarg_preload_length 0
		.amdhsa_user_sgpr_kernarg_preload_offset 0
		.amdhsa_user_sgpr_private_segment_size 0
		.amdhsa_uses_dynamic_stack 0
		.amdhsa_system_sgpr_private_segment_wavefront_offset 0
		.amdhsa_system_sgpr_workgroup_id_x 1
		.amdhsa_system_sgpr_workgroup_id_y 0
		.amdhsa_system_sgpr_workgroup_id_z 0
		.amdhsa_system_sgpr_workgroup_info 0
		.amdhsa_system_vgpr_workitem_id 0
		.amdhsa_next_free_vgpr 44
		.amdhsa_next_free_sgpr 43
		.amdhsa_accum_offset 44
		.amdhsa_reserve_vcc 1
		.amdhsa_reserve_flat_scratch 0
		.amdhsa_float_round_mode_32 0
		.amdhsa_float_round_mode_16_64 0
		.amdhsa_float_denorm_mode_32 3
		.amdhsa_float_denorm_mode_16_64 3
		.amdhsa_dx10_clamp 1
		.amdhsa_ieee_mode 1
		.amdhsa_fp16_overflow 0
		.amdhsa_tg_split 0
		.amdhsa_exception_fp_ieee_invalid_op 0
		.amdhsa_exception_fp_denorm_src 0
		.amdhsa_exception_fp_ieee_div_zero 0
		.amdhsa_exception_fp_ieee_overflow 0
		.amdhsa_exception_fp_ieee_underflow 0
		.amdhsa_exception_fp_ieee_inexact 0
		.amdhsa_exception_int_div_zero 0
	.end_amdhsa_kernel
	.text
.Lfunc_end0:
	.size	_Z9printAIGAPKiS0_S0_iii, .Lfunc_end0-_Z9printAIGAPKiS0_S0_iii
                                        ; -- End function
	.section	.AMDGPU.csdata,"",@progbits
; Kernel info:
; codeLenInByte = 39648
; NumSgprs: 47
; NumVgprs: 44
; NumAgprs: 0
; TotalNumVgprs: 44
; ScratchSize: 0
; MemoryBound: 0
; FloatMode: 240
; IeeeMode: 1
; LDSByteSize: 0 bytes/workgroup (compile time only)
; SGPRBlocks: 5
; VGPRBlocks: 5
; NumSGPRsForWavesPerEU: 47
; NumVGPRsForWavesPerEU: 44
; AccumOffset: 44
; Occupancy: 8
; WaveLimiterHint : 1
; COMPUTE_PGM_RSRC2:SCRATCH_EN: 0
; COMPUTE_PGM_RSRC2:USER_SGPR: 6
; COMPUTE_PGM_RSRC2:TRAP_HANDLER: 0
; COMPUTE_PGM_RSRC2:TGID_X_EN: 1
; COMPUTE_PGM_RSRC2:TGID_Y_EN: 0
; COMPUTE_PGM_RSRC2:TGID_Z_EN: 0
; COMPUTE_PGM_RSRC2:TIDIG_COMP_CNT: 0
; COMPUTE_PGM_RSRC3_GFX90A:ACCUM_OFFSET: 10
; COMPUTE_PGM_RSRC3_GFX90A:TG_SPLIT: 0
	.text
	.p2align	2                               ; -- Begin function __ockl_printf_append_string_n
	.type	__ockl_printf_append_string_n,@function
__ockl_printf_append_string_n:          ; @__ockl_printf_append_string_n
; %bb.0:
	s_waitcnt vmcnt(0) expcnt(0) lgkmcnt(0)
	v_mov_b32_e32 v9, v3
	v_mov_b32_e32 v8, v2
	v_or_b32_e32 v2, 2, v0
	v_cmp_eq_u32_e32 vcc, 0, v6
	s_mov_b32 s22, 0
	v_cndmask_b32_e32 v3, v2, v0, vcc
	s_mov_b64 s[6:7], 0
	v_cmp_ne_u64_e32 vcc, 0, v[8:9]
	v_mbcnt_lo_u32_b32 v2, -1, 0
	s_and_saveexec_b64 s[4:5], vcc
	s_xor_b64 s[10:11], exec, s[4:5]
	s_cbranch_execz .LBB1_86
; %bb.1:
	s_load_dwordx2 s[12:13], s[8:9], 0x50
	v_and_b32_e32 v6, 2, v3
	v_mov_b32_e32 v31, 0
	v_and_b32_e32 v0, -3, v3
	v_mbcnt_hi_u32_b32 v32, -1, v2
	s_movk_i32 s23, 0xff1f
	v_mov_b32_e32 v12, 2
	v_mov_b32_e32 v13, 1
	s_branch .LBB1_3
.LBB1_2:                                ;   in Loop: Header=BB1_3 Depth=1
	s_or_b64 exec, exec, s[16:17]
	v_sub_co_u32_e32 v4, vcc, v4, v34
	v_subb_co_u32_e32 v5, vcc, v5, v35, vcc
	v_cmp_eq_u64_e32 vcc, 0, v[4:5]
	s_or_b64 s[6:7], vcc, s[6:7]
	v_add_co_u32_e32 v8, vcc, v8, v34
	v_addc_co_u32_e32 v9, vcc, v9, v35, vcc
	s_andn2_b64 exec, exec, s[6:7]
	s_cbranch_execz .LBB1_85
.LBB1_3:                                ; =>This Loop Header: Depth=1
                                        ;     Child Loop BB1_6 Depth 2
                                        ;     Child Loop BB1_14 Depth 2
	;; [unrolled: 1-line block ×11, first 2 shown]
	v_cmp_gt_u64_e32 vcc, 56, v[4:5]
	v_cndmask_b32_e32 v35, 0, v5, vcc
	v_cndmask_b32_e32 v34, 56, v4, vcc
	v_cmp_gt_u64_e32 vcc, 8, v[4:5]
                                        ; implicit-def: $vgpr2_vgpr3
                                        ; implicit-def: $sgpr14
	s_and_saveexec_b64 s[4:5], vcc
	s_xor_b64 s[4:5], exec, s[4:5]
	s_cbranch_execz .LBB1_9
; %bb.4:                                ;   in Loop: Header=BB1_3 Depth=1
	s_mov_b64 s[16:17], 0
	v_cmp_ne_u64_e32 vcc, 0, v[4:5]
	s_waitcnt vmcnt(0)
	v_pk_mov_b32 v[2:3], 0, 0
	s_and_saveexec_b64 s[14:15], vcc
	s_cbranch_execz .LBB1_8
; %bb.5:                                ;   in Loop: Header=BB1_3 Depth=1
	v_lshlrev_b64 v[10:11], 3, v[34:35]
	v_pk_mov_b32 v[2:3], 0, 0
	v_pk_mov_b32 v[14:15], v[8:9], v[8:9] op_sel:[0,1]
	s_mov_b64 s[18:19], 0
.LBB1_6:                                ;   Parent Loop BB1_3 Depth=1
                                        ; =>  This Inner Loop Header: Depth=2
	flat_load_ubyte v7, v[14:15]
	v_mov_b32_e32 v17, s22
	v_add_co_u32_e32 v14, vcc, 1, v14
	v_addc_co_u32_e32 v15, vcc, 0, v15, vcc
	s_waitcnt vmcnt(0) lgkmcnt(0)
	v_and_b32_e32 v16, 0xffff, v7
	v_lshlrev_b64 v[16:17], s18, v[16:17]
	s_add_u32 s18, s18, 8
	s_addc_u32 s19, s19, 0
	v_cmp_eq_u32_e32 vcc, s18, v10
	v_or_b32_e32 v3, v17, v3
	s_or_b64 s[16:17], vcc, s[16:17]
	v_or_b32_e32 v2, v16, v2
	s_andn2_b64 exec, exec, s[16:17]
	s_cbranch_execnz .LBB1_6
; %bb.7:                                ;   in Loop: Header=BB1_3 Depth=1
	s_or_b64 exec, exec, s[16:17]
.LBB1_8:                                ;   in Loop: Header=BB1_3 Depth=1
	s_or_b64 exec, exec, s[14:15]
	s_mov_b32 s14, 0
.LBB1_9:                                ;   in Loop: Header=BB1_3 Depth=1
	s_or_saveexec_b64 s[4:5], s[4:5]
	v_mov_b32_e32 v7, s14
	v_pk_mov_b32 v[10:11], v[8:9], v[8:9] op_sel:[0,1]
	s_xor_b64 exec, exec, s[4:5]
	s_cbranch_execz .LBB1_11
; %bb.10:                               ;   in Loop: Header=BB1_3 Depth=1
	s_waitcnt vmcnt(0)
	flat_load_dwordx2 v[2:3], v[8:9]
	v_add_u32_e32 v7, -8, v34
	s_waitcnt vmcnt(0) lgkmcnt(0)
	v_and_b32_e32 v10, 0xff, v3
	v_and_b32_e32 v11, 0xff00, v3
	;; [unrolled: 1-line block ×4, first 2 shown]
	v_or_b32_e32 v10, v10, v11
	v_or3_b32 v3, v10, v14, v3
	v_add_co_u32_e32 v10, vcc, 8, v8
	v_or3_b32 v2, v2, 0, 0
	v_addc_co_u32_e32 v11, vcc, 0, v9, vcc
.LBB1_11:                               ;   in Loop: Header=BB1_3 Depth=1
	s_or_b64 exec, exec, s[4:5]
	v_cmp_gt_u32_e32 vcc, 8, v7
                                        ; implicit-def: $vgpr14_vgpr15
                                        ; implicit-def: $sgpr14
	s_and_saveexec_b64 s[4:5], vcc
	s_xor_b64 s[4:5], exec, s[4:5]
	s_cbranch_execz .LBB1_17
; %bb.12:                               ;   in Loop: Header=BB1_3 Depth=1
	v_cmp_ne_u32_e32 vcc, 0, v7
	v_pk_mov_b32 v[14:15], 0, 0
	s_and_saveexec_b64 s[14:15], vcc
	s_cbranch_execz .LBB1_16
; %bb.13:                               ;   in Loop: Header=BB1_3 Depth=1
	s_mov_b64 s[16:17], 0
	v_pk_mov_b32 v[14:15], 0, 0
	s_mov_b64 s[18:19], 0
	s_mov_b64 s[20:21], 0
.LBB1_14:                               ;   Parent Loop BB1_3 Depth=1
                                        ; =>  This Inner Loop Header: Depth=2
	v_mov_b32_e32 v17, s21
	v_add_co_u32_e32 v16, vcc, s20, v10
	v_addc_co_u32_e32 v17, vcc, v11, v17, vcc
	flat_load_ubyte v16, v[16:17]
	s_add_u32 s20, s20, 1
	v_mov_b32_e32 v17, s22
	s_addc_u32 s21, s21, 0
	v_cmp_eq_u32_e32 vcc, s20, v7
	s_waitcnt vmcnt(0) lgkmcnt(0)
	v_and_b32_e32 v16, 0xffff, v16
	v_lshlrev_b64 v[16:17], s18, v[16:17]
	s_add_u32 s18, s18, 8
	s_addc_u32 s19, s19, 0
	v_or_b32_e32 v15, v17, v15
	s_or_b64 s[16:17], vcc, s[16:17]
	v_or_b32_e32 v14, v16, v14
	s_andn2_b64 exec, exec, s[16:17]
	s_cbranch_execnz .LBB1_14
; %bb.15:                               ;   in Loop: Header=BB1_3 Depth=1
	s_or_b64 exec, exec, s[16:17]
.LBB1_16:                               ;   in Loop: Header=BB1_3 Depth=1
	s_or_b64 exec, exec, s[14:15]
	s_mov_b32 s14, 0
                                        ; implicit-def: $vgpr7
.LBB1_17:                               ;   in Loop: Header=BB1_3 Depth=1
	s_or_saveexec_b64 s[4:5], s[4:5]
	v_mov_b32_e32 v18, s14
	s_xor_b64 exec, exec, s[4:5]
	s_cbranch_execz .LBB1_19
; %bb.18:                               ;   in Loop: Header=BB1_3 Depth=1
	flat_load_dwordx2 v[14:15], v[10:11]
	v_add_u32_e32 v18, -8, v7
	v_add_co_u32_e32 v10, vcc, 8, v10
	v_addc_co_u32_e32 v11, vcc, 0, v11, vcc
	s_waitcnt vmcnt(0) lgkmcnt(0)
	v_and_b32_e32 v7, 0xff, v15
	v_and_b32_e32 v16, 0xff00, v15
	;; [unrolled: 1-line block ×4, first 2 shown]
	v_or_b32_e32 v7, v7, v16
	v_or3_b32 v14, v14, 0, 0
	v_or3_b32 v15, v7, v17, v15
.LBB1_19:                               ;   in Loop: Header=BB1_3 Depth=1
	s_or_b64 exec, exec, s[4:5]
	v_cmp_gt_u32_e32 vcc, 8, v18
                                        ; implicit-def: $sgpr14
	s_and_saveexec_b64 s[4:5], vcc
	s_xor_b64 s[4:5], exec, s[4:5]
	s_cbranch_execz .LBB1_25
; %bb.20:                               ;   in Loop: Header=BB1_3 Depth=1
	v_cmp_ne_u32_e32 vcc, 0, v18
	v_pk_mov_b32 v[16:17], 0, 0
	s_and_saveexec_b64 s[14:15], vcc
	s_cbranch_execz .LBB1_24
; %bb.21:                               ;   in Loop: Header=BB1_3 Depth=1
	s_mov_b64 s[16:17], 0
	v_pk_mov_b32 v[16:17], 0, 0
	s_mov_b64 s[18:19], 0
	s_mov_b64 s[20:21], 0
.LBB1_22:                               ;   Parent Loop BB1_3 Depth=1
                                        ; =>  This Inner Loop Header: Depth=2
	v_mov_b32_e32 v7, s21
	v_add_co_u32_e32 v20, vcc, s20, v10
	v_addc_co_u32_e32 v21, vcc, v11, v7, vcc
	flat_load_ubyte v7, v[20:21]
	s_add_u32 s20, s20, 1
	v_mov_b32_e32 v21, s22
	s_addc_u32 s21, s21, 0
	v_cmp_eq_u32_e32 vcc, s20, v18
	s_waitcnt vmcnt(0) lgkmcnt(0)
	v_and_b32_e32 v20, 0xffff, v7
	v_lshlrev_b64 v[20:21], s18, v[20:21]
	s_add_u32 s18, s18, 8
	s_addc_u32 s19, s19, 0
	v_or_b32_e32 v17, v21, v17
	s_or_b64 s[16:17], vcc, s[16:17]
	v_or_b32_e32 v16, v20, v16
	s_andn2_b64 exec, exec, s[16:17]
	s_cbranch_execnz .LBB1_22
; %bb.23:                               ;   in Loop: Header=BB1_3 Depth=1
	s_or_b64 exec, exec, s[16:17]
.LBB1_24:                               ;   in Loop: Header=BB1_3 Depth=1
	s_or_b64 exec, exec, s[14:15]
	s_mov_b32 s14, 0
                                        ; implicit-def: $vgpr18
.LBB1_25:                               ;   in Loop: Header=BB1_3 Depth=1
	s_or_saveexec_b64 s[4:5], s[4:5]
	v_mov_b32_e32 v7, s14
	s_xor_b64 exec, exec, s[4:5]
	s_cbranch_execz .LBB1_27
; %bb.26:                               ;   in Loop: Header=BB1_3 Depth=1
	flat_load_dwordx2 v[16:17], v[10:11]
	v_add_u32_e32 v7, -8, v18
	v_add_co_u32_e32 v10, vcc, 8, v10
	v_addc_co_u32_e32 v11, vcc, 0, v11, vcc
	s_waitcnt vmcnt(0) lgkmcnt(0)
	v_and_b32_e32 v18, 0xff, v17
	v_and_b32_e32 v19, 0xff00, v17
	;; [unrolled: 1-line block ×4, first 2 shown]
	v_or_b32_e32 v18, v18, v19
	v_or3_b32 v16, v16, 0, 0
	v_or3_b32 v17, v18, v20, v17
.LBB1_27:                               ;   in Loop: Header=BB1_3 Depth=1
	s_or_b64 exec, exec, s[4:5]
	v_cmp_gt_u32_e32 vcc, 8, v7
                                        ; implicit-def: $vgpr18_vgpr19
                                        ; implicit-def: $sgpr14
	s_and_saveexec_b64 s[4:5], vcc
	s_xor_b64 s[4:5], exec, s[4:5]
	s_cbranch_execz .LBB1_33
; %bb.28:                               ;   in Loop: Header=BB1_3 Depth=1
	v_cmp_ne_u32_e32 vcc, 0, v7
	v_pk_mov_b32 v[18:19], 0, 0
	s_and_saveexec_b64 s[14:15], vcc
	s_cbranch_execz .LBB1_32
; %bb.29:                               ;   in Loop: Header=BB1_3 Depth=1
	s_mov_b64 s[16:17], 0
	v_pk_mov_b32 v[18:19], 0, 0
	s_mov_b64 s[18:19], 0
	s_mov_b64 s[20:21], 0
.LBB1_30:                               ;   Parent Loop BB1_3 Depth=1
                                        ; =>  This Inner Loop Header: Depth=2
	v_mov_b32_e32 v21, s21
	v_add_co_u32_e32 v20, vcc, s20, v10
	v_addc_co_u32_e32 v21, vcc, v11, v21, vcc
	flat_load_ubyte v20, v[20:21]
	s_add_u32 s20, s20, 1
	v_mov_b32_e32 v21, s22
	s_addc_u32 s21, s21, 0
	v_cmp_eq_u32_e32 vcc, s20, v7
	s_waitcnt vmcnt(0) lgkmcnt(0)
	v_and_b32_e32 v20, 0xffff, v20
	v_lshlrev_b64 v[20:21], s18, v[20:21]
	s_add_u32 s18, s18, 8
	s_addc_u32 s19, s19, 0
	v_or_b32_e32 v19, v21, v19
	s_or_b64 s[16:17], vcc, s[16:17]
	v_or_b32_e32 v18, v20, v18
	s_andn2_b64 exec, exec, s[16:17]
	s_cbranch_execnz .LBB1_30
; %bb.31:                               ;   in Loop: Header=BB1_3 Depth=1
	s_or_b64 exec, exec, s[16:17]
.LBB1_32:                               ;   in Loop: Header=BB1_3 Depth=1
	s_or_b64 exec, exec, s[14:15]
	s_mov_b32 s14, 0
                                        ; implicit-def: $vgpr7
.LBB1_33:                               ;   in Loop: Header=BB1_3 Depth=1
	s_or_saveexec_b64 s[4:5], s[4:5]
	v_mov_b32_e32 v22, s14
	s_xor_b64 exec, exec, s[4:5]
	s_cbranch_execz .LBB1_35
; %bb.34:                               ;   in Loop: Header=BB1_3 Depth=1
	flat_load_dwordx2 v[18:19], v[10:11]
	v_add_u32_e32 v22, -8, v7
	v_add_co_u32_e32 v10, vcc, 8, v10
	v_addc_co_u32_e32 v11, vcc, 0, v11, vcc
	s_waitcnt vmcnt(0) lgkmcnt(0)
	v_and_b32_e32 v7, 0xff, v19
	v_and_b32_e32 v20, 0xff00, v19
	;; [unrolled: 1-line block ×4, first 2 shown]
	v_or_b32_e32 v7, v7, v20
	v_or3_b32 v18, v18, 0, 0
	v_or3_b32 v19, v7, v21, v19
.LBB1_35:                               ;   in Loop: Header=BB1_3 Depth=1
	s_or_b64 exec, exec, s[4:5]
	v_cmp_gt_u32_e32 vcc, 8, v22
                                        ; implicit-def: $sgpr14
	s_and_saveexec_b64 s[4:5], vcc
	s_xor_b64 s[4:5], exec, s[4:5]
	s_cbranch_execz .LBB1_41
; %bb.36:                               ;   in Loop: Header=BB1_3 Depth=1
	v_cmp_ne_u32_e32 vcc, 0, v22
	v_pk_mov_b32 v[20:21], 0, 0
	s_and_saveexec_b64 s[14:15], vcc
	s_cbranch_execz .LBB1_40
; %bb.37:                               ;   in Loop: Header=BB1_3 Depth=1
	s_mov_b64 s[16:17], 0
	v_pk_mov_b32 v[20:21], 0, 0
	s_mov_b64 s[18:19], 0
	s_mov_b64 s[20:21], 0
.LBB1_38:                               ;   Parent Loop BB1_3 Depth=1
                                        ; =>  This Inner Loop Header: Depth=2
	v_mov_b32_e32 v7, s21
	v_add_co_u32_e32 v24, vcc, s20, v10
	v_addc_co_u32_e32 v25, vcc, v11, v7, vcc
	flat_load_ubyte v7, v[24:25]
	s_add_u32 s20, s20, 1
	v_mov_b32_e32 v25, s22
	s_addc_u32 s21, s21, 0
	v_cmp_eq_u32_e32 vcc, s20, v22
	s_waitcnt vmcnt(0) lgkmcnt(0)
	v_and_b32_e32 v24, 0xffff, v7
	v_lshlrev_b64 v[24:25], s18, v[24:25]
	s_add_u32 s18, s18, 8
	s_addc_u32 s19, s19, 0
	v_or_b32_e32 v21, v25, v21
	s_or_b64 s[16:17], vcc, s[16:17]
	v_or_b32_e32 v20, v24, v20
	s_andn2_b64 exec, exec, s[16:17]
	s_cbranch_execnz .LBB1_38
; %bb.39:                               ;   in Loop: Header=BB1_3 Depth=1
	s_or_b64 exec, exec, s[16:17]
.LBB1_40:                               ;   in Loop: Header=BB1_3 Depth=1
	s_or_b64 exec, exec, s[14:15]
	s_mov_b32 s14, 0
                                        ; implicit-def: $vgpr22
.LBB1_41:                               ;   in Loop: Header=BB1_3 Depth=1
	s_or_saveexec_b64 s[4:5], s[4:5]
	v_mov_b32_e32 v7, s14
	s_xor_b64 exec, exec, s[4:5]
	s_cbranch_execz .LBB1_43
; %bb.42:                               ;   in Loop: Header=BB1_3 Depth=1
	flat_load_dwordx2 v[20:21], v[10:11]
	v_add_u32_e32 v7, -8, v22
	v_add_co_u32_e32 v10, vcc, 8, v10
	v_addc_co_u32_e32 v11, vcc, 0, v11, vcc
	s_waitcnt vmcnt(0) lgkmcnt(0)
	v_and_b32_e32 v22, 0xff, v21
	v_and_b32_e32 v23, 0xff00, v21
	;; [unrolled: 1-line block ×4, first 2 shown]
	v_or_b32_e32 v22, v22, v23
	v_or3_b32 v20, v20, 0, 0
	v_or3_b32 v21, v22, v24, v21
.LBB1_43:                               ;   in Loop: Header=BB1_3 Depth=1
	s_or_b64 exec, exec, s[4:5]
	v_cmp_gt_u32_e32 vcc, 8, v7
                                        ; implicit-def: $vgpr22_vgpr23
                                        ; implicit-def: $sgpr14
	s_and_saveexec_b64 s[4:5], vcc
	s_xor_b64 s[4:5], exec, s[4:5]
	s_cbranch_execz .LBB1_49
; %bb.44:                               ;   in Loop: Header=BB1_3 Depth=1
	v_cmp_ne_u32_e32 vcc, 0, v7
	v_pk_mov_b32 v[22:23], 0, 0
	s_and_saveexec_b64 s[14:15], vcc
	s_cbranch_execz .LBB1_48
; %bb.45:                               ;   in Loop: Header=BB1_3 Depth=1
	s_mov_b64 s[16:17], 0
	v_pk_mov_b32 v[22:23], 0, 0
	s_mov_b64 s[18:19], 0
	s_mov_b64 s[20:21], 0
.LBB1_46:                               ;   Parent Loop BB1_3 Depth=1
                                        ; =>  This Inner Loop Header: Depth=2
	v_mov_b32_e32 v25, s21
	v_add_co_u32_e32 v24, vcc, s20, v10
	v_addc_co_u32_e32 v25, vcc, v11, v25, vcc
	flat_load_ubyte v24, v[24:25]
	s_add_u32 s20, s20, 1
	v_mov_b32_e32 v25, s22
	s_addc_u32 s21, s21, 0
	v_cmp_eq_u32_e32 vcc, s20, v7
	s_waitcnt vmcnt(0) lgkmcnt(0)
	v_and_b32_e32 v24, 0xffff, v24
	v_lshlrev_b64 v[24:25], s18, v[24:25]
	s_add_u32 s18, s18, 8
	s_addc_u32 s19, s19, 0
	v_or_b32_e32 v23, v25, v23
	s_or_b64 s[16:17], vcc, s[16:17]
	v_or_b32_e32 v22, v24, v22
	s_andn2_b64 exec, exec, s[16:17]
	s_cbranch_execnz .LBB1_46
; %bb.47:                               ;   in Loop: Header=BB1_3 Depth=1
	s_or_b64 exec, exec, s[16:17]
.LBB1_48:                               ;   in Loop: Header=BB1_3 Depth=1
	s_or_b64 exec, exec, s[14:15]
	s_mov_b32 s14, 0
                                        ; implicit-def: $vgpr7
.LBB1_49:                               ;   in Loop: Header=BB1_3 Depth=1
	s_or_saveexec_b64 s[4:5], s[4:5]
	v_mov_b32_e32 v26, s14
	s_xor_b64 exec, exec, s[4:5]
	s_cbranch_execz .LBB1_51
; %bb.50:                               ;   in Loop: Header=BB1_3 Depth=1
	flat_load_dwordx2 v[22:23], v[10:11]
	v_add_u32_e32 v26, -8, v7
	v_add_co_u32_e32 v10, vcc, 8, v10
	v_addc_co_u32_e32 v11, vcc, 0, v11, vcc
	s_waitcnt vmcnt(0) lgkmcnt(0)
	v_and_b32_e32 v7, 0xff, v23
	v_and_b32_e32 v24, 0xff00, v23
	;; [unrolled: 1-line block ×4, first 2 shown]
	v_or_b32_e32 v7, v7, v24
	v_or3_b32 v22, v22, 0, 0
	v_or3_b32 v23, v7, v25, v23
.LBB1_51:                               ;   in Loop: Header=BB1_3 Depth=1
	s_or_b64 exec, exec, s[4:5]
	v_cmp_gt_u32_e32 vcc, 8, v26
	s_and_saveexec_b64 s[4:5], vcc
	s_xor_b64 s[4:5], exec, s[4:5]
	s_cbranch_execz .LBB1_57
; %bb.52:                               ;   in Loop: Header=BB1_3 Depth=1
	v_cmp_ne_u32_e32 vcc, 0, v26
	v_pk_mov_b32 v[24:25], 0, 0
	s_and_saveexec_b64 s[14:15], vcc
	s_cbranch_execz .LBB1_56
; %bb.53:                               ;   in Loop: Header=BB1_3 Depth=1
	s_mov_b64 s[16:17], 0
	v_pk_mov_b32 v[24:25], 0, 0
	s_mov_b64 s[18:19], 0
.LBB1_54:                               ;   Parent Loop BB1_3 Depth=1
                                        ; =>  This Inner Loop Header: Depth=2
	flat_load_ubyte v7, v[10:11]
	v_mov_b32_e32 v29, s22
	v_add_co_u32_e32 v10, vcc, 1, v10
	v_add_u32_e32 v26, -1, v26
	v_addc_co_u32_e32 v11, vcc, 0, v11, vcc
	v_cmp_eq_u32_e32 vcc, 0, v26
	s_waitcnt vmcnt(0) lgkmcnt(0)
	v_and_b32_e32 v28, 0xffff, v7
	v_lshlrev_b64 v[28:29], s18, v[28:29]
	s_add_u32 s18, s18, 8
	s_addc_u32 s19, s19, 0
	v_or_b32_e32 v25, v29, v25
	s_or_b64 s[16:17], vcc, s[16:17]
	v_or_b32_e32 v24, v28, v24
	s_andn2_b64 exec, exec, s[16:17]
	s_cbranch_execnz .LBB1_54
; %bb.55:                               ;   in Loop: Header=BB1_3 Depth=1
	s_or_b64 exec, exec, s[16:17]
.LBB1_56:                               ;   in Loop: Header=BB1_3 Depth=1
	s_or_b64 exec, exec, s[14:15]
                                        ; implicit-def: $vgpr10_vgpr11
.LBB1_57:                               ;   in Loop: Header=BB1_3 Depth=1
	s_andn2_saveexec_b64 s[4:5], s[4:5]
	s_cbranch_execz .LBB1_59
; %bb.58:                               ;   in Loop: Header=BB1_3 Depth=1
	flat_load_dwordx2 v[10:11], v[10:11]
	s_waitcnt vmcnt(0) lgkmcnt(0)
	v_and_b32_e32 v7, 0xff, v11
	v_and_b32_e32 v24, 0xff00, v11
	;; [unrolled: 1-line block ×4, first 2 shown]
	v_or_b32_e32 v7, v7, v24
	v_or3_b32 v25, v7, v25, v11
	v_or3_b32 v24, v10, 0, 0
.LBB1_59:                               ;   in Loop: Header=BB1_3 Depth=1
	s_or_b64 exec, exec, s[4:5]
	v_readfirstlane_b32 s4, v32
	v_cmp_eq_u32_e64 s[4:5], s4, v32
	v_pk_mov_b32 v[10:11], 0, 0
	s_and_saveexec_b64 s[14:15], s[4:5]
	s_cbranch_execz .LBB1_65
; %bb.60:                               ;   in Loop: Header=BB1_3 Depth=1
	s_waitcnt lgkmcnt(0)
	global_load_dwordx2 v[28:29], v31, s[12:13] offset:24 glc
	s_waitcnt vmcnt(0)
	buffer_invl2
	buffer_wbinvl1_vol
	global_load_dwordx2 v[10:11], v31, s[12:13] offset:40
	global_load_dwordx2 v[26:27], v31, s[12:13]
	s_waitcnt vmcnt(1)
	v_and_b32_e32 v7, v10, v28
	v_and_b32_e32 v10, v11, v29
	v_mul_lo_u32 v10, v10, 24
	v_mul_hi_u32 v11, v7, 24
	v_mul_lo_u32 v7, v7, 24
	v_add_u32_e32 v11, v11, v10
	s_waitcnt vmcnt(0)
	v_add_co_u32_e32 v10, vcc, v26, v7
	v_addc_co_u32_e32 v11, vcc, v27, v11, vcc
	global_load_dwordx2 v[26:27], v[10:11], off glc
	s_waitcnt vmcnt(0)
	global_atomic_cmpswap_x2 v[10:11], v31, v[26:29], s[12:13] offset:24 glc
	s_waitcnt vmcnt(0)
	buffer_invl2
	buffer_wbinvl1_vol
	v_cmp_ne_u64_e32 vcc, v[10:11], v[28:29]
	s_and_saveexec_b64 s[16:17], vcc
	s_cbranch_execz .LBB1_64
; %bb.61:                               ;   in Loop: Header=BB1_3 Depth=1
	s_mov_b64 s[18:19], 0
.LBB1_62:                               ;   Parent Loop BB1_3 Depth=1
                                        ; =>  This Inner Loop Header: Depth=2
	s_sleep 1
	global_load_dwordx2 v[26:27], v31, s[12:13] offset:40
	global_load_dwordx2 v[36:37], v31, s[12:13]
	v_pk_mov_b32 v[28:29], v[10:11], v[10:11] op_sel:[0,1]
	s_waitcnt vmcnt(1)
	v_and_b32_e32 v10, v26, v28
	s_waitcnt vmcnt(0)
	v_mad_u64_u32 v[10:11], s[20:21], v10, 24, v[36:37]
	v_and_b32_e32 v7, v27, v29
	v_mov_b32_e32 v26, v11
	v_mad_u64_u32 v[26:27], s[20:21], v7, 24, v[26:27]
	v_mov_b32_e32 v11, v26
	global_load_dwordx2 v[26:27], v[10:11], off glc
	s_waitcnt vmcnt(0)
	global_atomic_cmpswap_x2 v[10:11], v31, v[26:29], s[12:13] offset:24 glc
	s_waitcnt vmcnt(0)
	buffer_invl2
	buffer_wbinvl1_vol
	v_cmp_eq_u64_e32 vcc, v[10:11], v[28:29]
	s_or_b64 s[18:19], vcc, s[18:19]
	s_andn2_b64 exec, exec, s[18:19]
	s_cbranch_execnz .LBB1_62
; %bb.63:                               ;   in Loop: Header=BB1_3 Depth=1
	s_or_b64 exec, exec, s[18:19]
.LBB1_64:                               ;   in Loop: Header=BB1_3 Depth=1
	s_or_b64 exec, exec, s[16:17]
.LBB1_65:                               ;   in Loop: Header=BB1_3 Depth=1
	s_or_b64 exec, exec, s[14:15]
	s_waitcnt lgkmcnt(0)
	global_load_dwordx2 v[36:37], v31, s[12:13] offset:40
	global_load_dwordx4 v[26:29], v31, s[12:13]
	v_readfirstlane_b32 s14, v10
	v_readfirstlane_b32 s15, v11
	s_mov_b64 s[16:17], exec
	s_waitcnt vmcnt(1)
	v_readfirstlane_b32 s18, v36
	v_readfirstlane_b32 s19, v37
	s_and_b64 s[18:19], s[14:15], s[18:19]
	s_mul_i32 s20, s19, 24
	s_mul_hi_u32 s21, s18, 24
	s_mul_i32 s24, s18, 24
	s_add_i32 s20, s21, s20
	v_mov_b32_e32 v7, s20
	s_waitcnt vmcnt(0)
	v_add_co_u32_e32 v36, vcc, s24, v26
	v_addc_co_u32_e32 v37, vcc, v27, v7, vcc
	s_and_saveexec_b64 s[20:21], s[4:5]
	s_cbranch_execz .LBB1_67
; %bb.66:                               ;   in Loop: Header=BB1_3 Depth=1
	v_pk_mov_b32 v[10:11], s[16:17], s[16:17] op_sel:[0,1]
	global_store_dwordx4 v[36:37], v[10:13], off offset:8
.LBB1_67:                               ;   in Loop: Header=BB1_3 Depth=1
	s_or_b64 exec, exec, s[20:21]
	s_lshl_b64 s[16:17], s[18:19], 12
	v_mov_b32_e32 v7, s17
	v_add_co_u32_e32 v10, vcc, s16, v28
	v_addc_co_u32_e32 v7, vcc, v29, v7, vcc
	v_or_b32_e32 v11, 0, v1
	v_cmp_lt_u64_e32 vcc, 56, v[4:5]
	v_or_b32_e32 v28, v0, v6
	v_cndmask_b32_e32 v1, v11, v1, vcc
	v_lshl_add_u32 v11, v34, 2, 28
	v_cndmask_b32_e32 v0, v28, v0, vcc
	v_and_b32_e32 v11, 0x1e0, v11
	v_and_or_b32 v0, v0, s23, v11
	v_lshlrev_b32_e32 v11, 6, v32
	v_readfirstlane_b32 s16, v10
	v_readfirstlane_b32 s17, v7
	s_nop 4
	global_store_dwordx4 v11, v[0:3], s[16:17]
	global_store_dwordx4 v11, v[14:17], s[16:17] offset:16
	global_store_dwordx4 v11, v[18:21], s[16:17] offset:32
	;; [unrolled: 1-line block ×3, first 2 shown]
	s_and_saveexec_b64 s[16:17], s[4:5]
	s_cbranch_execz .LBB1_75
; %bb.68:                               ;   in Loop: Header=BB1_3 Depth=1
	global_load_dwordx2 v[18:19], v31, s[12:13] offset:32 glc
	global_load_dwordx2 v[0:1], v31, s[12:13] offset:40
	v_mov_b32_e32 v16, s14
	v_mov_b32_e32 v17, s15
	s_waitcnt vmcnt(0)
	v_readfirstlane_b32 s18, v0
	v_readfirstlane_b32 s19, v1
	s_and_b64 s[18:19], s[18:19], s[14:15]
	s_mul_i32 s19, s19, 24
	s_mul_hi_u32 s20, s18, 24
	s_mul_i32 s18, s18, 24
	s_add_i32 s19, s20, s19
	v_mov_b32_e32 v0, s19
	v_add_co_u32_e32 v14, vcc, s18, v26
	v_addc_co_u32_e32 v15, vcc, v27, v0, vcc
	global_store_dwordx2 v[14:15], v[18:19], off
	buffer_wbl2
	s_waitcnt vmcnt(0)
	global_atomic_cmpswap_x2 v[2:3], v31, v[16:19], s[12:13] offset:32 glc
	s_waitcnt vmcnt(0)
	v_cmp_ne_u64_e32 vcc, v[2:3], v[18:19]
	s_and_saveexec_b64 s[18:19], vcc
	s_cbranch_execz .LBB1_71
; %bb.69:                               ;   in Loop: Header=BB1_3 Depth=1
	s_mov_b64 s[20:21], 0
.LBB1_70:                               ;   Parent Loop BB1_3 Depth=1
                                        ; =>  This Inner Loop Header: Depth=2
	s_sleep 1
	global_store_dwordx2 v[14:15], v[2:3], off
	v_mov_b32_e32 v0, s14
	v_mov_b32_e32 v1, s15
	buffer_wbl2
	s_waitcnt vmcnt(0)
	global_atomic_cmpswap_x2 v[0:1], v31, v[0:3], s[12:13] offset:32 glc
	s_waitcnt vmcnt(0)
	v_cmp_eq_u64_e32 vcc, v[0:1], v[2:3]
	s_or_b64 s[20:21], vcc, s[20:21]
	v_pk_mov_b32 v[2:3], v[0:1], v[0:1] op_sel:[0,1]
	s_andn2_b64 exec, exec, s[20:21]
	s_cbranch_execnz .LBB1_70
.LBB1_71:                               ;   in Loop: Header=BB1_3 Depth=1
	s_or_b64 exec, exec, s[18:19]
	global_load_dwordx2 v[0:1], v31, s[12:13] offset:16
	s_mov_b64 s[20:21], exec
	v_mbcnt_lo_u32_b32 v2, s20, 0
	v_mbcnt_hi_u32_b32 v2, s21, v2
	v_cmp_eq_u32_e32 vcc, 0, v2
	s_and_saveexec_b64 s[18:19], vcc
	s_cbranch_execz .LBB1_73
; %bb.72:                               ;   in Loop: Header=BB1_3 Depth=1
	s_bcnt1_i32_b64 s20, s[20:21]
	v_mov_b32_e32 v30, s20
	buffer_wbl2
	s_waitcnt vmcnt(0)
	global_atomic_add_x2 v[0:1], v[30:31], off offset:8
.LBB1_73:                               ;   in Loop: Header=BB1_3 Depth=1
	s_or_b64 exec, exec, s[18:19]
	s_waitcnt vmcnt(0)
	global_load_dwordx2 v[2:3], v[0:1], off offset:16
	s_waitcnt vmcnt(0)
	v_cmp_eq_u64_e32 vcc, 0, v[2:3]
	s_cbranch_vccnz .LBB1_75
; %bb.74:                               ;   in Loop: Header=BB1_3 Depth=1
	global_load_dword v30, v[0:1], off offset:24
	s_waitcnt vmcnt(0)
	v_and_b32_e32 v0, 0xffffff, v30
	v_readfirstlane_b32 m0, v0
	buffer_wbl2
	global_store_dwordx2 v[2:3], v[30:31], off
	s_sendmsg sendmsg(MSG_INTERRUPT)
.LBB1_75:                               ;   in Loop: Header=BB1_3 Depth=1
	s_or_b64 exec, exec, s[16:17]
	v_add_co_u32_e32 v0, vcc, v10, v11
	v_addc_co_u32_e32 v1, vcc, 0, v7, vcc
	s_branch .LBB1_79
.LBB1_76:                               ;   in Loop: Header=BB1_79 Depth=2
	s_or_b64 exec, exec, s[16:17]
	v_readfirstlane_b32 s16, v2
	s_cmp_eq_u32 s16, 0
	s_cbranch_scc1 .LBB1_78
; %bb.77:                               ;   in Loop: Header=BB1_79 Depth=2
	s_sleep 1
	s_cbranch_execnz .LBB1_79
	s_branch .LBB1_81
.LBB1_78:                               ;   in Loop: Header=BB1_3 Depth=1
	s_branch .LBB1_81
.LBB1_79:                               ;   Parent Loop BB1_3 Depth=1
                                        ; =>  This Inner Loop Header: Depth=2
	v_mov_b32_e32 v2, 1
	s_and_saveexec_b64 s[16:17], s[4:5]
	s_cbranch_execz .LBB1_76
; %bb.80:                               ;   in Loop: Header=BB1_79 Depth=2
	global_load_dword v2, v[36:37], off offset:20 glc
	s_waitcnt vmcnt(0)
	buffer_invl2
	buffer_wbinvl1_vol
	v_and_b32_e32 v2, 1, v2
	s_branch .LBB1_76
.LBB1_81:                               ;   in Loop: Header=BB1_3 Depth=1
	global_load_dwordx4 v[0:3], v[0:1], off
	s_and_saveexec_b64 s[16:17], s[4:5]
	s_cbranch_execz .LBB1_2
; %bb.82:                               ;   in Loop: Header=BB1_3 Depth=1
	global_load_dwordx2 v[2:3], v31, s[12:13] offset:40
	global_load_dwordx2 v[10:11], v31, s[12:13] offset:24 glc
	global_load_dwordx2 v[18:19], v31, s[12:13]
	v_mov_b32_e32 v7, s15
	s_waitcnt vmcnt(2)
	v_add_co_u32_e32 v17, vcc, 1, v2
	v_addc_co_u32_e32 v20, vcc, 0, v3, vcc
	v_add_co_u32_e32 v14, vcc, s14, v17
	v_addc_co_u32_e32 v15, vcc, v20, v7, vcc
	v_cmp_eq_u64_e32 vcc, 0, v[14:15]
	v_cndmask_b32_e32 v15, v15, v20, vcc
	v_cndmask_b32_e32 v14, v14, v17, vcc
	v_and_b32_e32 v3, v15, v3
	v_and_b32_e32 v2, v14, v2
	v_mul_lo_u32 v3, v3, 24
	v_mul_hi_u32 v7, v2, 24
	v_mul_lo_u32 v2, v2, 24
	v_add_u32_e32 v3, v7, v3
	s_waitcnt vmcnt(0)
	v_add_co_u32_e32 v2, vcc, v18, v2
	v_addc_co_u32_e32 v3, vcc, v19, v3, vcc
	v_mov_b32_e32 v16, v10
	global_store_dwordx2 v[2:3], v[10:11], off
	v_mov_b32_e32 v17, v11
	buffer_wbl2
	s_waitcnt vmcnt(0)
	global_atomic_cmpswap_x2 v[16:17], v31, v[14:17], s[12:13] offset:24 glc
	s_waitcnt vmcnt(0)
	v_cmp_ne_u64_e32 vcc, v[16:17], v[10:11]
	s_and_b64 exec, exec, vcc
	s_cbranch_execz .LBB1_2
; %bb.83:                               ;   in Loop: Header=BB1_3 Depth=1
	s_mov_b64 s[4:5], 0
.LBB1_84:                               ;   Parent Loop BB1_3 Depth=1
                                        ; =>  This Inner Loop Header: Depth=2
	s_sleep 1
	global_store_dwordx2 v[2:3], v[16:17], off
	buffer_wbl2
	s_waitcnt vmcnt(0)
	global_atomic_cmpswap_x2 v[10:11], v31, v[14:17], s[12:13] offset:24 glc
	s_waitcnt vmcnt(0)
	v_cmp_eq_u64_e32 vcc, v[10:11], v[16:17]
	s_or_b64 s[4:5], vcc, s[4:5]
	v_pk_mov_b32 v[16:17], v[10:11], v[10:11] op_sel:[0,1]
	s_andn2_b64 exec, exec, s[4:5]
	s_cbranch_execnz .LBB1_84
	s_branch .LBB1_2
.LBB1_85:
	s_or_b64 exec, exec, s[6:7]
                                        ; implicit-def: $vgpr3
                                        ; implicit-def: $vgpr2
.LBB1_86:
	s_andn2_saveexec_b64 s[6:7], s[10:11]
	s_cbranch_execz .LBB1_109
; %bb.87:
	s_load_dwordx2 s[8:9], s[8:9], 0x50
	s_waitcnt vmcnt(0)
	v_mbcnt_hi_u32_b32 v10, -1, v2
	v_readfirstlane_b32 s4, v10
	v_cmp_eq_u32_e64 s[4:5], s4, v10
	v_pk_mov_b32 v[8:9], 0, 0
	s_and_saveexec_b64 s[10:11], s[4:5]
	s_cbranch_execz .LBB1_93
; %bb.88:
	v_mov_b32_e32 v0, 0
	s_waitcnt lgkmcnt(0)
	global_load_dwordx2 v[6:7], v0, s[8:9] offset:24 glc
	s_waitcnt vmcnt(0)
	buffer_invl2
	buffer_wbinvl1_vol
	global_load_dwordx2 v[4:5], v0, s[8:9] offset:40
	global_load_dwordx2 v[8:9], v0, s[8:9]
	s_waitcnt vmcnt(1)
	v_and_b32_e32 v2, v4, v6
	v_and_b32_e32 v4, v5, v7
	v_mul_lo_u32 v4, v4, 24
	v_mul_hi_u32 v5, v2, 24
	v_mul_lo_u32 v2, v2, 24
	v_add_u32_e32 v5, v5, v4
	s_waitcnt vmcnt(0)
	v_add_co_u32_e32 v4, vcc, v8, v2
	v_addc_co_u32_e32 v5, vcc, v9, v5, vcc
	global_load_dwordx2 v[4:5], v[4:5], off glc
	s_waitcnt vmcnt(0)
	global_atomic_cmpswap_x2 v[8:9], v0, v[4:7], s[8:9] offset:24 glc
	s_waitcnt vmcnt(0)
	buffer_invl2
	buffer_wbinvl1_vol
	v_cmp_ne_u64_e32 vcc, v[8:9], v[6:7]
	s_and_saveexec_b64 s[12:13], vcc
	s_cbranch_execz .LBB1_92
; %bb.89:
	s_mov_b64 s[14:15], 0
.LBB1_90:                               ; =>This Inner Loop Header: Depth=1
	s_sleep 1
	global_load_dwordx2 v[4:5], v0, s[8:9] offset:40
	global_load_dwordx2 v[12:13], v0, s[8:9]
	v_pk_mov_b32 v[6:7], v[8:9], v[8:9] op_sel:[0,1]
	s_waitcnt vmcnt(1)
	v_and_b32_e32 v2, v4, v6
	v_and_b32_e32 v8, v5, v7
	s_waitcnt vmcnt(0)
	v_mad_u64_u32 v[4:5], s[16:17], v2, 24, v[12:13]
	v_mov_b32_e32 v2, v5
	v_mad_u64_u32 v[8:9], s[16:17], v8, 24, v[2:3]
	v_mov_b32_e32 v5, v8
	global_load_dwordx2 v[4:5], v[4:5], off glc
	s_waitcnt vmcnt(0)
	global_atomic_cmpswap_x2 v[8:9], v0, v[4:7], s[8:9] offset:24 glc
	s_waitcnt vmcnt(0)
	buffer_invl2
	buffer_wbinvl1_vol
	v_cmp_eq_u64_e32 vcc, v[8:9], v[6:7]
	s_or_b64 s[14:15], vcc, s[14:15]
	s_andn2_b64 exec, exec, s[14:15]
	s_cbranch_execnz .LBB1_90
; %bb.91:
	s_or_b64 exec, exec, s[14:15]
.LBB1_92:
	s_or_b64 exec, exec, s[12:13]
.LBB1_93:
	s_or_b64 exec, exec, s[10:11]
	v_mov_b32_e32 v2, 0
	s_waitcnt lgkmcnt(0)
	global_load_dwordx2 v[12:13], v2, s[8:9] offset:40
	global_load_dwordx4 v[4:7], v2, s[8:9]
	v_readfirstlane_b32 s10, v8
	v_readfirstlane_b32 s11, v9
	s_mov_b64 s[12:13], exec
	s_waitcnt vmcnt(1)
	v_readfirstlane_b32 s14, v12
	v_readfirstlane_b32 s15, v13
	s_and_b64 s[14:15], s[10:11], s[14:15]
	s_mul_i32 s16, s15, 24
	s_mul_hi_u32 s17, s14, 24
	s_mul_i32 s18, s14, 24
	s_add_i32 s16, s17, s16
	v_mov_b32_e32 v0, s16
	s_waitcnt vmcnt(0)
	v_add_co_u32_e32 v8, vcc, s18, v4
	v_addc_co_u32_e32 v9, vcc, v5, v0, vcc
	s_and_saveexec_b64 s[16:17], s[4:5]
	s_cbranch_execz .LBB1_95
; %bb.94:
	v_pk_mov_b32 v[12:13], s[12:13], s[12:13] op_sel:[0,1]
	v_mov_b32_e32 v14, 2
	v_mov_b32_e32 v15, 1
	global_store_dwordx4 v[8:9], v[12:15], off offset:8
.LBB1_95:
	s_or_b64 exec, exec, s[16:17]
	s_lshl_b64 s[12:13], s[14:15], 12
	v_mov_b32_e32 v0, s13
	v_add_co_u32_e32 v12, vcc, s12, v6
	s_movk_i32 s12, 0xff1f
	v_addc_co_u32_e32 v11, vcc, v7, v0, vcc
	v_and_or_b32 v0, v3, s12, 32
	s_mov_b32 s12, 0
	v_lshlrev_b32_e32 v10, 6, v10
	v_mov_b32_e32 v3, v2
	v_readfirstlane_b32 s16, v12
	v_readfirstlane_b32 s17, v11
	s_mov_b32 s13, s12
	v_add_co_u32_e32 v6, vcc, v12, v10
	s_mov_b32 s14, s12
	s_mov_b32 s15, s12
	s_nop 0
	global_store_dwordx4 v10, v[0:3], s[16:17]
	v_addc_co_u32_e32 v7, vcc, 0, v11, vcc
	v_pk_mov_b32 v[0:1], s[12:13], s[12:13] op_sel:[0,1]
	v_pk_mov_b32 v[2:3], s[14:15], s[14:15] op_sel:[0,1]
	global_store_dwordx4 v10, v[0:3], s[16:17] offset:16
	global_store_dwordx4 v10, v[0:3], s[16:17] offset:32
	;; [unrolled: 1-line block ×3, first 2 shown]
	s_and_saveexec_b64 s[12:13], s[4:5]
	s_cbranch_execz .LBB1_103
; %bb.96:
	v_mov_b32_e32 v10, 0
	global_load_dwordx2 v[14:15], v10, s[8:9] offset:32 glc
	global_load_dwordx2 v[0:1], v10, s[8:9] offset:40
	v_mov_b32_e32 v12, s10
	v_mov_b32_e32 v13, s11
	s_waitcnt vmcnt(0)
	v_and_b32_e32 v0, s10, v0
	v_and_b32_e32 v1, s11, v1
	v_mul_lo_u32 v1, v1, 24
	v_mul_hi_u32 v2, v0, 24
	v_mul_lo_u32 v0, v0, 24
	v_add_u32_e32 v1, v2, v1
	v_add_co_u32_e32 v4, vcc, v4, v0
	v_addc_co_u32_e32 v5, vcc, v5, v1, vcc
	global_store_dwordx2 v[4:5], v[14:15], off
	buffer_wbl2
	s_waitcnt vmcnt(0)
	global_atomic_cmpswap_x2 v[2:3], v10, v[12:15], s[8:9] offset:32 glc
	s_waitcnt vmcnt(0)
	v_cmp_ne_u64_e32 vcc, v[2:3], v[14:15]
	s_and_saveexec_b64 s[14:15], vcc
	s_cbranch_execz .LBB1_99
; %bb.97:
	s_mov_b64 s[16:17], 0
.LBB1_98:                               ; =>This Inner Loop Header: Depth=1
	s_sleep 1
	global_store_dwordx2 v[4:5], v[2:3], off
	v_mov_b32_e32 v0, s10
	v_mov_b32_e32 v1, s11
	buffer_wbl2
	s_waitcnt vmcnt(0)
	global_atomic_cmpswap_x2 v[0:1], v10, v[0:3], s[8:9] offset:32 glc
	s_waitcnt vmcnt(0)
	v_cmp_eq_u64_e32 vcc, v[0:1], v[2:3]
	s_or_b64 s[16:17], vcc, s[16:17]
	v_pk_mov_b32 v[2:3], v[0:1], v[0:1] op_sel:[0,1]
	s_andn2_b64 exec, exec, s[16:17]
	s_cbranch_execnz .LBB1_98
.LBB1_99:
	s_or_b64 exec, exec, s[14:15]
	v_mov_b32_e32 v3, 0
	global_load_dwordx2 v[0:1], v3, s[8:9] offset:16
	s_mov_b64 s[14:15], exec
	v_mbcnt_lo_u32_b32 v2, s14, 0
	v_mbcnt_hi_u32_b32 v2, s15, v2
	v_cmp_eq_u32_e32 vcc, 0, v2
	s_and_saveexec_b64 s[16:17], vcc
	s_cbranch_execz .LBB1_101
; %bb.100:
	s_bcnt1_i32_b64 s14, s[14:15]
	v_mov_b32_e32 v2, s14
	buffer_wbl2
	s_waitcnt vmcnt(0)
	global_atomic_add_x2 v[0:1], v[2:3], off offset:8
.LBB1_101:
	s_or_b64 exec, exec, s[16:17]
	s_waitcnt vmcnt(0)
	global_load_dwordx2 v[2:3], v[0:1], off offset:16
	s_waitcnt vmcnt(0)
	v_cmp_eq_u64_e32 vcc, 0, v[2:3]
	s_cbranch_vccnz .LBB1_103
; %bb.102:
	global_load_dword v0, v[0:1], off offset:24
	v_mov_b32_e32 v1, 0
	buffer_wbl2
	s_waitcnt vmcnt(0)
	global_store_dwordx2 v[2:3], v[0:1], off
	v_and_b32_e32 v0, 0xffffff, v0
	v_readfirstlane_b32 m0, v0
	s_sendmsg sendmsg(MSG_INTERRUPT)
.LBB1_103:
	s_or_b64 exec, exec, s[12:13]
	s_branch .LBB1_107
.LBB1_104:                              ;   in Loop: Header=BB1_107 Depth=1
	s_or_b64 exec, exec, s[12:13]
	v_readfirstlane_b32 s12, v0
	s_cmp_eq_u32 s12, 0
	s_cbranch_scc1 .LBB1_106
; %bb.105:                              ;   in Loop: Header=BB1_107 Depth=1
	s_sleep 1
	s_cbranch_execnz .LBB1_107
	s_branch .LBB1_110
.LBB1_106:
	s_branch .LBB1_110
.LBB1_107:                              ; =>This Inner Loop Header: Depth=1
	v_mov_b32_e32 v0, 1
	s_and_saveexec_b64 s[12:13], s[4:5]
	s_cbranch_execz .LBB1_104
; %bb.108:                              ;   in Loop: Header=BB1_107 Depth=1
	global_load_dword v0, v[8:9], off offset:20 glc
	s_waitcnt vmcnt(0)
	buffer_invl2
	buffer_wbinvl1_vol
	v_and_b32_e32 v0, 1, v0
	s_branch .LBB1_104
.LBB1_109:
	s_or_b64 exec, exec, s[6:7]
	s_waitcnt vmcnt(0) lgkmcnt(0)
	s_setpc_b64 s[30:31]
.LBB1_110:
	global_load_dwordx2 v[0:1], v[6:7], off
	s_and_saveexec_b64 s[12:13], s[4:5]
	s_cbranch_execz .LBB1_113
; %bb.111:
	v_mov_b32_e32 v8, 0
	global_load_dwordx2 v[6:7], v8, s[8:9] offset:40
	global_load_dwordx2 v[10:11], v8, s[8:9] offset:24 glc
	global_load_dwordx2 v[12:13], v8, s[8:9]
	v_mov_b32_e32 v3, s11
	s_mov_b64 s[4:5], 0
	s_waitcnt vmcnt(2)
	v_add_co_u32_e32 v5, vcc, 1, v6
	v_addc_co_u32_e32 v9, vcc, 0, v7, vcc
	v_add_co_u32_e32 v2, vcc, s10, v5
	v_addc_co_u32_e32 v3, vcc, v9, v3, vcc
	v_cmp_eq_u64_e32 vcc, 0, v[2:3]
	v_cndmask_b32_e32 v3, v3, v9, vcc
	v_cndmask_b32_e32 v2, v2, v5, vcc
	v_and_b32_e32 v5, v3, v7
	v_and_b32_e32 v6, v2, v6
	v_mul_lo_u32 v5, v5, 24
	v_mul_hi_u32 v7, v6, 24
	v_mul_lo_u32 v6, v6, 24
	v_add_u32_e32 v5, v7, v5
	s_waitcnt vmcnt(0)
	v_add_co_u32_e32 v6, vcc, v12, v6
	v_addc_co_u32_e32 v7, vcc, v13, v5, vcc
	v_mov_b32_e32 v4, v10
	global_store_dwordx2 v[6:7], v[10:11], off
	v_mov_b32_e32 v5, v11
	buffer_wbl2
	s_waitcnt vmcnt(0)
	global_atomic_cmpswap_x2 v[4:5], v8, v[2:5], s[8:9] offset:24 glc
	s_waitcnt vmcnt(0)
	v_cmp_ne_u64_e32 vcc, v[4:5], v[10:11]
	s_and_b64 exec, exec, vcc
	s_cbranch_execz .LBB1_113
.LBB1_112:                              ; =>This Inner Loop Header: Depth=1
	s_sleep 1
	global_store_dwordx2 v[6:7], v[4:5], off
	buffer_wbl2
	s_waitcnt vmcnt(0)
	global_atomic_cmpswap_x2 v[10:11], v8, v[2:5], s[8:9] offset:24 glc
	s_waitcnt vmcnt(0)
	v_cmp_eq_u64_e32 vcc, v[10:11], v[4:5]
	s_or_b64 s[4:5], vcc, s[4:5]
	v_pk_mov_b32 v[4:5], v[10:11], v[10:11] op_sel:[0,1]
	s_andn2_b64 exec, exec, s[4:5]
	s_cbranch_execnz .LBB1_112
.LBB1_113:
	s_or_b64 exec, exec, s[12:13]
	s_or_b64 exec, exec, s[6:7]
	s_waitcnt vmcnt(0) lgkmcnt(0)
	s_setpc_b64 s[30:31]
.Lfunc_end1:
	.size	__ockl_printf_append_string_n, .Lfunc_end1-__ockl_printf_append_string_n
                                        ; -- End function
	.section	.AMDGPU.csdata,"",@progbits
; Function info:
; codeLenInByte = 4384
; NumSgprs: 36
; NumVgprs: 38
; NumAgprs: 0
; TotalNumVgprs: 38
; ScratchSize: 0
; MemoryBound: 0
	.text
	.protected	_Z8printAIGPKiS0_S0_iii ; -- Begin function _Z8printAIGPKiS0_S0_iii
	.globl	_Z8printAIGPKiS0_S0_iii
	.p2align	8
	.type	_Z8printAIGPKiS0_S0_iii,@function
_Z8printAIGPKiS0_S0_iii:                ; @_Z8printAIGPKiS0_S0_iii
; %bb.0:
	s_load_dwordx2 s[34:35], s[4:5], 0x78
	s_add_u32 flat_scratch_lo, s6, s9
	v_mbcnt_lo_u32_b32 v0, -1, 0
	s_addc_u32 flat_scratch_hi, s7, 0
	v_mbcnt_hi_u32_b32 v43, -1, v0
	s_add_u32 s0, s0, s9
	s_mov_b64 s[26:27], s[4:5]
	v_readfirstlane_b32 s4, v43
	s_addc_u32 s1, s1, 0
	v_cmp_eq_u32_e64 s[4:5], s4, v43
	v_pk_mov_b32 v[6:7], 0, 0
	s_mov_b32 s32, 0
	s_and_saveexec_b64 s[6:7], s[4:5]
	s_cbranch_execz .LBB2_6
; %bb.1:
	v_mov_b32_e32 v0, 0
	s_waitcnt lgkmcnt(0)
	global_load_dwordx2 v[4:5], v0, s[34:35] offset:24 glc
	s_waitcnt vmcnt(0)
	buffer_invl2
	buffer_wbinvl1_vol
	global_load_dwordx2 v[2:3], v0, s[34:35] offset:40
	global_load_dwordx2 v[6:7], v0, s[34:35]
	s_waitcnt vmcnt(1)
	v_and_b32_e32 v1, v2, v4
	v_and_b32_e32 v2, v3, v5
	v_mul_lo_u32 v2, v2, 24
	v_mul_hi_u32 v3, v1, 24
	v_mul_lo_u32 v1, v1, 24
	v_add_u32_e32 v3, v3, v2
	s_waitcnt vmcnt(0)
	v_add_co_u32_e32 v2, vcc, v6, v1
	v_addc_co_u32_e32 v3, vcc, v7, v3, vcc
	global_load_dwordx2 v[2:3], v[2:3], off glc
	s_waitcnt vmcnt(0)
	global_atomic_cmpswap_x2 v[6:7], v0, v[2:5], s[34:35] offset:24 glc
	s_waitcnt vmcnt(0)
	buffer_invl2
	buffer_wbinvl1_vol
	v_cmp_ne_u64_e32 vcc, v[6:7], v[4:5]
	s_and_saveexec_b64 s[8:9], vcc
	s_cbranch_execz .LBB2_5
; %bb.2:
	s_mov_b64 s[10:11], 0
.LBB2_3:                                ; =>This Inner Loop Header: Depth=1
	s_sleep 1
	global_load_dwordx2 v[2:3], v0, s[34:35] offset:40
	global_load_dwordx2 v[8:9], v0, s[34:35]
	v_pk_mov_b32 v[4:5], v[6:7], v[6:7] op_sel:[0,1]
	s_waitcnt vmcnt(1)
	v_and_b32_e32 v2, v2, v4
	v_and_b32_e32 v1, v3, v5
	s_waitcnt vmcnt(0)
	v_mad_u64_u32 v[2:3], s[12:13], v2, 24, v[8:9]
	v_mov_b32_e32 v6, v3
	v_mad_u64_u32 v[6:7], s[12:13], v1, 24, v[6:7]
	v_mov_b32_e32 v3, v6
	global_load_dwordx2 v[2:3], v[2:3], off glc
	s_waitcnt vmcnt(0)
	global_atomic_cmpswap_x2 v[6:7], v0, v[2:5], s[34:35] offset:24 glc
	s_waitcnt vmcnt(0)
	buffer_invl2
	buffer_wbinvl1_vol
	v_cmp_eq_u64_e32 vcc, v[6:7], v[4:5]
	s_or_b64 s[10:11], vcc, s[10:11]
	s_andn2_b64 exec, exec, s[10:11]
	s_cbranch_execnz .LBB2_3
; %bb.4:
	s_or_b64 exec, exec, s[10:11]
.LBB2_5:
	s_or_b64 exec, exec, s[8:9]
.LBB2_6:
	s_or_b64 exec, exec, s[6:7]
	v_mov_b32_e32 v5, 0
	s_waitcnt lgkmcnt(0)
	global_load_dwordx2 v[8:9], v5, s[34:35] offset:40
	global_load_dwordx4 v[0:3], v5, s[34:35]
	v_readfirstlane_b32 s6, v6
	v_readfirstlane_b32 s7, v7
	s_mov_b64 s[8:9], exec
	s_waitcnt vmcnt(1)
	v_readfirstlane_b32 s10, v8
	v_readfirstlane_b32 s11, v9
	s_and_b64 s[10:11], s[6:7], s[10:11]
	s_mul_i32 s12, s11, 24
	s_mul_hi_u32 s13, s10, 24
	s_mul_i32 s14, s10, 24
	s_add_i32 s12, s13, s12
	v_mov_b32_e32 v4, s12
	s_waitcnt vmcnt(0)
	v_add_co_u32_e32 v8, vcc, s14, v0
	v_addc_co_u32_e32 v9, vcc, v1, v4, vcc
	s_and_saveexec_b64 s[12:13], s[4:5]
	s_cbranch_execz .LBB2_8
; %bb.7:
	v_pk_mov_b32 v[10:11], s[8:9], s[8:9] op_sel:[0,1]
	v_mov_b32_e32 v12, 2
	v_mov_b32_e32 v13, 1
	global_store_dwordx4 v[8:9], v[10:13], off offset:8
.LBB2_8:
	s_or_b64 exec, exec, s[12:13]
	s_lshl_b64 s[8:9], s[10:11], 12
	v_mov_b32_e32 v4, s9
	v_add_co_u32_e32 v2, vcc, s8, v2
	v_addc_co_u32_e32 v3, vcc, v3, v4, vcc
	s_mov_b32 s8, 0
	v_lshlrev_b32_e32 v42, 6, v43
	v_add_co_u32_e32 v10, vcc, v2, v42
	v_mov_b32_e32 v4, 33
	v_mov_b32_e32 v6, v5
	;; [unrolled: 1-line block ×3, first 2 shown]
	v_readfirstlane_b32 s12, v2
	v_readfirstlane_b32 s13, v3
	s_mov_b32 s9, s8
	v_addc_co_u32_e32 v11, vcc, 0, v3, vcc
	s_mov_b32 s10, s8
	s_mov_b32 s11, s8
	s_nop 0
	global_store_dwordx4 v42, v[4:7], s[12:13]
	v_pk_mov_b32 v[2:3], s[8:9], s[8:9] op_sel:[0,1]
	v_pk_mov_b32 v[4:5], s[10:11], s[10:11] op_sel:[0,1]
	global_store_dwordx4 v42, v[2:5], s[12:13] offset:16
	global_store_dwordx4 v42, v[2:5], s[12:13] offset:32
	;; [unrolled: 1-line block ×3, first 2 shown]
	s_and_saveexec_b64 s[8:9], s[4:5]
	s_cbranch_execz .LBB2_16
; %bb.9:
	v_mov_b32_e32 v6, 0
	global_load_dwordx2 v[14:15], v6, s[34:35] offset:32 glc
	global_load_dwordx2 v[2:3], v6, s[34:35] offset:40
	v_mov_b32_e32 v12, s6
	v_mov_b32_e32 v13, s7
	s_waitcnt vmcnt(0)
	v_and_b32_e32 v2, s6, v2
	v_and_b32_e32 v3, s7, v3
	v_mul_lo_u32 v3, v3, 24
	v_mul_hi_u32 v4, v2, 24
	v_mul_lo_u32 v2, v2, 24
	v_add_u32_e32 v3, v4, v3
	v_add_co_u32_e32 v4, vcc, v0, v2
	v_addc_co_u32_e32 v5, vcc, v1, v3, vcc
	global_store_dwordx2 v[4:5], v[14:15], off
	buffer_wbl2
	s_waitcnt vmcnt(0)
	global_atomic_cmpswap_x2 v[2:3], v6, v[12:15], s[34:35] offset:32 glc
	s_waitcnt vmcnt(0)
	v_cmp_ne_u64_e32 vcc, v[2:3], v[14:15]
	s_and_saveexec_b64 s[10:11], vcc
	s_cbranch_execz .LBB2_12
; %bb.10:
	s_mov_b64 s[12:13], 0
.LBB2_11:                               ; =>This Inner Loop Header: Depth=1
	s_sleep 1
	global_store_dwordx2 v[4:5], v[2:3], off
	v_mov_b32_e32 v0, s6
	v_mov_b32_e32 v1, s7
	buffer_wbl2
	s_waitcnt vmcnt(0)
	global_atomic_cmpswap_x2 v[0:1], v6, v[0:3], s[34:35] offset:32 glc
	s_waitcnt vmcnt(0)
	v_cmp_eq_u64_e32 vcc, v[0:1], v[2:3]
	s_or_b64 s[12:13], vcc, s[12:13]
	v_pk_mov_b32 v[2:3], v[0:1], v[0:1] op_sel:[0,1]
	s_andn2_b64 exec, exec, s[12:13]
	s_cbranch_execnz .LBB2_11
.LBB2_12:
	s_or_b64 exec, exec, s[10:11]
	v_mov_b32_e32 v3, 0
	global_load_dwordx2 v[0:1], v3, s[34:35] offset:16
	s_mov_b64 s[10:11], exec
	v_mbcnt_lo_u32_b32 v2, s10, 0
	v_mbcnt_hi_u32_b32 v2, s11, v2
	v_cmp_eq_u32_e32 vcc, 0, v2
	s_and_saveexec_b64 s[12:13], vcc
	s_cbranch_execz .LBB2_14
; %bb.13:
	s_bcnt1_i32_b64 s10, s[10:11]
	v_mov_b32_e32 v2, s10
	buffer_wbl2
	s_waitcnt vmcnt(0)
	global_atomic_add_x2 v[0:1], v[2:3], off offset:8
.LBB2_14:
	s_or_b64 exec, exec, s[12:13]
	s_waitcnt vmcnt(0)
	global_load_dwordx2 v[2:3], v[0:1], off offset:16
	s_waitcnt vmcnt(0)
	v_cmp_eq_u64_e32 vcc, 0, v[2:3]
	s_cbranch_vccnz .LBB2_16
; %bb.15:
	global_load_dword v0, v[0:1], off offset:24
	v_mov_b32_e32 v1, 0
	buffer_wbl2
	s_waitcnt vmcnt(0)
	global_store_dwordx2 v[2:3], v[0:1], off
	v_and_b32_e32 v0, 0xffffff, v0
	v_readfirstlane_b32 m0, v0
	s_sendmsg sendmsg(MSG_INTERRUPT)
.LBB2_16:
	s_or_b64 exec, exec, s[8:9]
	s_branch .LBB2_20
.LBB2_17:                               ;   in Loop: Header=BB2_20 Depth=1
	s_or_b64 exec, exec, s[8:9]
	v_readfirstlane_b32 s8, v0
	s_cmp_eq_u32 s8, 0
	s_cbranch_scc1 .LBB2_19
; %bb.18:                               ;   in Loop: Header=BB2_20 Depth=1
	s_sleep 1
	s_cbranch_execnz .LBB2_20
	s_branch .LBB2_22
.LBB2_19:
	s_branch .LBB2_22
.LBB2_20:                               ; =>This Inner Loop Header: Depth=1
	v_mov_b32_e32 v0, 1
	s_and_saveexec_b64 s[8:9], s[4:5]
	s_cbranch_execz .LBB2_17
; %bb.21:                               ;   in Loop: Header=BB2_20 Depth=1
	global_load_dword v0, v[8:9], off offset:20 glc
	s_waitcnt vmcnt(0)
	buffer_invl2
	buffer_wbinvl1_vol
	v_and_b32_e32 v0, 1, v0
	s_branch .LBB2_17
.LBB2_22:
	global_load_dwordx2 v[0:1], v[10:11], off
	s_and_saveexec_b64 s[8:9], s[4:5]
	s_cbranch_execz .LBB2_25
; %bb.23:
	v_mov_b32_e32 v8, 0
	global_load_dwordx2 v[6:7], v8, s[34:35] offset:40
	global_load_dwordx2 v[10:11], v8, s[34:35] offset:24 glc
	global_load_dwordx2 v[12:13], v8, s[34:35]
	v_mov_b32_e32 v3, s7
	s_mov_b64 s[4:5], 0
	s_waitcnt vmcnt(2)
	v_add_co_u32_e32 v5, vcc, 1, v6
	v_addc_co_u32_e32 v9, vcc, 0, v7, vcc
	v_add_co_u32_e32 v2, vcc, s6, v5
	v_addc_co_u32_e32 v3, vcc, v9, v3, vcc
	v_cmp_eq_u64_e32 vcc, 0, v[2:3]
	v_cndmask_b32_e32 v3, v3, v9, vcc
	v_cndmask_b32_e32 v2, v2, v5, vcc
	v_and_b32_e32 v5, v3, v7
	v_and_b32_e32 v6, v2, v6
	v_mul_lo_u32 v5, v5, 24
	v_mul_hi_u32 v7, v6, 24
	v_mul_lo_u32 v6, v6, 24
	v_add_u32_e32 v5, v7, v5
	s_waitcnt vmcnt(0)
	v_add_co_u32_e32 v6, vcc, v12, v6
	v_addc_co_u32_e32 v7, vcc, v13, v5, vcc
	v_mov_b32_e32 v4, v10
	global_store_dwordx2 v[6:7], v[10:11], off
	v_mov_b32_e32 v5, v11
	buffer_wbl2
	s_waitcnt vmcnt(0)
	global_atomic_cmpswap_x2 v[4:5], v8, v[2:5], s[34:35] offset:24 glc
	s_waitcnt vmcnt(0)
	v_cmp_ne_u64_e32 vcc, v[4:5], v[10:11]
	s_and_b64 exec, exec, vcc
	s_cbranch_execz .LBB2_25
.LBB2_24:                               ; =>This Inner Loop Header: Depth=1
	s_sleep 1
	global_store_dwordx2 v[6:7], v[4:5], off
	buffer_wbl2
	s_waitcnt vmcnt(0)
	global_atomic_cmpswap_x2 v[10:11], v8, v[2:5], s[34:35] offset:24 glc
	s_waitcnt vmcnt(0)
	v_cmp_eq_u64_e32 vcc, v[10:11], v[4:5]
	s_or_b64 s[4:5], vcc, s[4:5]
	v_pk_mov_b32 v[4:5], v[10:11], v[10:11] op_sel:[0,1]
	s_andn2_b64 exec, exec, s[4:5]
	s_cbranch_execnz .LBB2_24
.LBB2_25:
	s_or_b64 exec, exec, s[8:9]
	s_getpc_b64 s[6:7]
	s_add_u32 s6, s6, .str.6@rel32@lo+4
	s_addc_u32 s7, s7, .str.6@rel32@hi+12
	s_cmp_lg_u64 s[6:7], 0
	s_cbranch_scc0 .LBB2_110
; %bb.26:
	s_waitcnt vmcnt(0)
	v_and_b32_e32 v6, -3, v0
	v_mov_b32_e32 v7, v1
	s_mov_b64 s[8:9], 19
	v_mov_b32_e32 v27, 0
	v_mov_b32_e32 v4, 2
	;; [unrolled: 1-line block ×3, first 2 shown]
	s_branch .LBB2_28
.LBB2_27:                               ;   in Loop: Header=BB2_28 Depth=1
	s_or_b64 exec, exec, s[14:15]
	s_sub_u32 s8, s8, s10
	s_subb_u32 s9, s9, s11
	s_add_u32 s6, s6, s10
	s_addc_u32 s7, s7, s11
	s_cmp_lg_u64 s[8:9], 0
	s_cbranch_scc0 .LBB2_109
.LBB2_28:                               ; =>This Loop Header: Depth=1
                                        ;     Child Loop BB2_31 Depth 2
                                        ;     Child Loop BB2_38 Depth 2
	;; [unrolled: 1-line block ×11, first 2 shown]
	v_cmp_lt_u64_e64 s[4:5], s[8:9], 56
	s_and_b64 s[4:5], s[4:5], exec
	v_cmp_gt_u64_e64 s[4:5], s[8:9], 7
	s_cselect_b32 s11, s9, 0
	s_cselect_b32 s10, s8, 56
	s_and_b64 vcc, exec, s[4:5]
	s_cbranch_vccnz .LBB2_33
; %bb.29:                               ;   in Loop: Header=BB2_28 Depth=1
	s_mov_b64 s[4:5], 0
	s_cmp_eq_u64 s[8:9], 0
	s_waitcnt vmcnt(0)
	v_pk_mov_b32 v[8:9], 0, 0
	s_cbranch_scc1 .LBB2_32
; %bb.30:                               ;   in Loop: Header=BB2_28 Depth=1
	s_lshl_b64 s[12:13], s[10:11], 3
	s_mov_b64 s[14:15], 0
	v_pk_mov_b32 v[8:9], 0, 0
	s_mov_b64 s[16:17], s[6:7]
.LBB2_31:                               ;   Parent Loop BB2_28 Depth=1
                                        ; =>  This Inner Loop Header: Depth=2
	global_load_ubyte v2, v27, s[16:17]
	s_waitcnt vmcnt(0)
	v_and_b32_e32 v26, 0xffff, v2
	v_lshlrev_b64 v[2:3], s14, v[26:27]
	s_add_u32 s14, s14, 8
	s_addc_u32 s15, s15, 0
	s_add_u32 s16, s16, 1
	s_addc_u32 s17, s17, 0
	v_or_b32_e32 v8, v2, v8
	s_cmp_lg_u32 s12, s14
	v_or_b32_e32 v9, v3, v9
	s_cbranch_scc1 .LBB2_31
.LBB2_32:                               ;   in Loop: Header=BB2_28 Depth=1
	s_mov_b32 s16, 0
	s_andn2_b64 vcc, exec, s[4:5]
	s_mov_b64 s[4:5], s[6:7]
	s_cbranch_vccz .LBB2_34
	s_branch .LBB2_35
.LBB2_33:                               ;   in Loop: Header=BB2_28 Depth=1
                                        ; implicit-def: $sgpr16
	s_mov_b64 s[4:5], s[6:7]
.LBB2_34:                               ;   in Loop: Header=BB2_28 Depth=1
	global_load_dwordx2 v[8:9], v27, s[6:7]
	s_add_i32 s16, s10, -8
	s_add_u32 s4, s6, 8
	s_addc_u32 s5, s7, 0
.LBB2_35:                               ;   in Loop: Header=BB2_28 Depth=1
	s_cmp_gt_u32 s16, 7
	s_cbranch_scc1 .LBB2_39
; %bb.36:                               ;   in Loop: Header=BB2_28 Depth=1
	s_cmp_eq_u32 s16, 0
	s_cbranch_scc1 .LBB2_40
; %bb.37:                               ;   in Loop: Header=BB2_28 Depth=1
	s_mov_b64 s[12:13], 0
	v_pk_mov_b32 v[10:11], 0, 0
	s_mov_b64 s[14:15], 0
.LBB2_38:                               ;   Parent Loop BB2_28 Depth=1
                                        ; =>  This Inner Loop Header: Depth=2
	s_add_u32 s18, s4, s14
	s_addc_u32 s19, s5, s15
	global_load_ubyte v2, v27, s[18:19]
	s_add_u32 s14, s14, 1
	s_addc_u32 s15, s15, 0
	s_waitcnt vmcnt(0)
	v_and_b32_e32 v26, 0xffff, v2
	v_lshlrev_b64 v[2:3], s12, v[26:27]
	s_add_u32 s12, s12, 8
	s_addc_u32 s13, s13, 0
	v_or_b32_e32 v10, v2, v10
	s_cmp_lg_u32 s16, s14
	v_or_b32_e32 v11, v3, v11
	s_cbranch_scc1 .LBB2_38
	s_branch .LBB2_41
.LBB2_39:                               ;   in Loop: Header=BB2_28 Depth=1
                                        ; implicit-def: $vgpr10_vgpr11
                                        ; implicit-def: $sgpr17
	s_branch .LBB2_42
.LBB2_40:                               ;   in Loop: Header=BB2_28 Depth=1
	v_pk_mov_b32 v[10:11], 0, 0
.LBB2_41:                               ;   in Loop: Header=BB2_28 Depth=1
	s_mov_b32 s17, 0
	s_cbranch_execnz .LBB2_43
.LBB2_42:                               ;   in Loop: Header=BB2_28 Depth=1
	global_load_dwordx2 v[10:11], v27, s[4:5]
	s_add_i32 s17, s16, -8
	s_add_u32 s4, s4, 8
	s_addc_u32 s5, s5, 0
.LBB2_43:                               ;   in Loop: Header=BB2_28 Depth=1
	s_cmp_gt_u32 s17, 7
	s_cbranch_scc1 .LBB2_47
; %bb.44:                               ;   in Loop: Header=BB2_28 Depth=1
	s_cmp_eq_u32 s17, 0
	s_cbranch_scc1 .LBB2_48
; %bb.45:                               ;   in Loop: Header=BB2_28 Depth=1
	s_mov_b64 s[12:13], 0
	v_pk_mov_b32 v[12:13], 0, 0
	s_mov_b64 s[14:15], 0
.LBB2_46:                               ;   Parent Loop BB2_28 Depth=1
                                        ; =>  This Inner Loop Header: Depth=2
	s_add_u32 s18, s4, s14
	s_addc_u32 s19, s5, s15
	global_load_ubyte v2, v27, s[18:19]
	s_add_u32 s14, s14, 1
	s_addc_u32 s15, s15, 0
	s_waitcnt vmcnt(0)
	v_and_b32_e32 v26, 0xffff, v2
	v_lshlrev_b64 v[2:3], s12, v[26:27]
	s_add_u32 s12, s12, 8
	s_addc_u32 s13, s13, 0
	v_or_b32_e32 v12, v2, v12
	s_cmp_lg_u32 s17, s14
	v_or_b32_e32 v13, v3, v13
	s_cbranch_scc1 .LBB2_46
	s_branch .LBB2_49
.LBB2_47:                               ;   in Loop: Header=BB2_28 Depth=1
                                        ; implicit-def: $sgpr16
	s_branch .LBB2_50
.LBB2_48:                               ;   in Loop: Header=BB2_28 Depth=1
	v_pk_mov_b32 v[12:13], 0, 0
.LBB2_49:                               ;   in Loop: Header=BB2_28 Depth=1
	s_mov_b32 s16, 0
	s_cbranch_execnz .LBB2_51
.LBB2_50:                               ;   in Loop: Header=BB2_28 Depth=1
	global_load_dwordx2 v[12:13], v27, s[4:5]
	s_add_i32 s16, s17, -8
	s_add_u32 s4, s4, 8
	s_addc_u32 s5, s5, 0
.LBB2_51:                               ;   in Loop: Header=BB2_28 Depth=1
	s_cmp_gt_u32 s16, 7
	s_cbranch_scc1 .LBB2_55
; %bb.52:                               ;   in Loop: Header=BB2_28 Depth=1
	s_cmp_eq_u32 s16, 0
	s_cbranch_scc1 .LBB2_56
; %bb.53:                               ;   in Loop: Header=BB2_28 Depth=1
	s_mov_b64 s[12:13], 0
	v_pk_mov_b32 v[14:15], 0, 0
	s_mov_b64 s[14:15], 0
.LBB2_54:                               ;   Parent Loop BB2_28 Depth=1
                                        ; =>  This Inner Loop Header: Depth=2
	s_add_u32 s18, s4, s14
	s_addc_u32 s19, s5, s15
	global_load_ubyte v2, v27, s[18:19]
	s_add_u32 s14, s14, 1
	s_addc_u32 s15, s15, 0
	s_waitcnt vmcnt(0)
	v_and_b32_e32 v26, 0xffff, v2
	v_lshlrev_b64 v[2:3], s12, v[26:27]
	s_add_u32 s12, s12, 8
	s_addc_u32 s13, s13, 0
	v_or_b32_e32 v14, v2, v14
	s_cmp_lg_u32 s16, s14
	v_or_b32_e32 v15, v3, v15
	s_cbranch_scc1 .LBB2_54
	s_branch .LBB2_57
.LBB2_55:                               ;   in Loop: Header=BB2_28 Depth=1
                                        ; implicit-def: $vgpr14_vgpr15
                                        ; implicit-def: $sgpr17
	s_branch .LBB2_58
.LBB2_56:                               ;   in Loop: Header=BB2_28 Depth=1
	v_pk_mov_b32 v[14:15], 0, 0
.LBB2_57:                               ;   in Loop: Header=BB2_28 Depth=1
	s_mov_b32 s17, 0
	s_cbranch_execnz .LBB2_59
.LBB2_58:                               ;   in Loop: Header=BB2_28 Depth=1
	global_load_dwordx2 v[14:15], v27, s[4:5]
	s_add_i32 s17, s16, -8
	s_add_u32 s4, s4, 8
	s_addc_u32 s5, s5, 0
.LBB2_59:                               ;   in Loop: Header=BB2_28 Depth=1
	s_cmp_gt_u32 s17, 7
	s_cbranch_scc1 .LBB2_63
; %bb.60:                               ;   in Loop: Header=BB2_28 Depth=1
	s_cmp_eq_u32 s17, 0
	s_cbranch_scc1 .LBB2_64
; %bb.61:                               ;   in Loop: Header=BB2_28 Depth=1
	s_mov_b64 s[12:13], 0
	v_pk_mov_b32 v[16:17], 0, 0
	s_mov_b64 s[14:15], 0
.LBB2_62:                               ;   Parent Loop BB2_28 Depth=1
                                        ; =>  This Inner Loop Header: Depth=2
	s_add_u32 s18, s4, s14
	s_addc_u32 s19, s5, s15
	global_load_ubyte v2, v27, s[18:19]
	s_add_u32 s14, s14, 1
	s_addc_u32 s15, s15, 0
	s_waitcnt vmcnt(0)
	v_and_b32_e32 v26, 0xffff, v2
	v_lshlrev_b64 v[2:3], s12, v[26:27]
	s_add_u32 s12, s12, 8
	s_addc_u32 s13, s13, 0
	v_or_b32_e32 v16, v2, v16
	s_cmp_lg_u32 s17, s14
	v_or_b32_e32 v17, v3, v17
	s_cbranch_scc1 .LBB2_62
	s_branch .LBB2_65
.LBB2_63:                               ;   in Loop: Header=BB2_28 Depth=1
                                        ; implicit-def: $sgpr16
	s_branch .LBB2_66
.LBB2_64:                               ;   in Loop: Header=BB2_28 Depth=1
	v_pk_mov_b32 v[16:17], 0, 0
.LBB2_65:                               ;   in Loop: Header=BB2_28 Depth=1
	s_mov_b32 s16, 0
	s_cbranch_execnz .LBB2_67
.LBB2_66:                               ;   in Loop: Header=BB2_28 Depth=1
	global_load_dwordx2 v[16:17], v27, s[4:5]
	s_add_i32 s16, s17, -8
	s_add_u32 s4, s4, 8
	s_addc_u32 s5, s5, 0
.LBB2_67:                               ;   in Loop: Header=BB2_28 Depth=1
	s_cmp_gt_u32 s16, 7
	s_cbranch_scc1 .LBB2_71
; %bb.68:                               ;   in Loop: Header=BB2_28 Depth=1
	s_cmp_eq_u32 s16, 0
	s_cbranch_scc1 .LBB2_72
; %bb.69:                               ;   in Loop: Header=BB2_28 Depth=1
	s_mov_b64 s[12:13], 0
	v_pk_mov_b32 v[18:19], 0, 0
	s_mov_b64 s[14:15], 0
.LBB2_70:                               ;   Parent Loop BB2_28 Depth=1
                                        ; =>  This Inner Loop Header: Depth=2
	s_add_u32 s18, s4, s14
	s_addc_u32 s19, s5, s15
	global_load_ubyte v2, v27, s[18:19]
	s_add_u32 s14, s14, 1
	s_addc_u32 s15, s15, 0
	s_waitcnt vmcnt(0)
	v_and_b32_e32 v26, 0xffff, v2
	v_lshlrev_b64 v[2:3], s12, v[26:27]
	s_add_u32 s12, s12, 8
	s_addc_u32 s13, s13, 0
	v_or_b32_e32 v18, v2, v18
	s_cmp_lg_u32 s16, s14
	v_or_b32_e32 v19, v3, v19
	s_cbranch_scc1 .LBB2_70
	s_branch .LBB2_73
.LBB2_71:                               ;   in Loop: Header=BB2_28 Depth=1
                                        ; implicit-def: $vgpr18_vgpr19
                                        ; implicit-def: $sgpr17
	s_branch .LBB2_74
.LBB2_72:                               ;   in Loop: Header=BB2_28 Depth=1
	v_pk_mov_b32 v[18:19], 0, 0
.LBB2_73:                               ;   in Loop: Header=BB2_28 Depth=1
	s_mov_b32 s17, 0
	s_cbranch_execnz .LBB2_75
.LBB2_74:                               ;   in Loop: Header=BB2_28 Depth=1
	global_load_dwordx2 v[18:19], v27, s[4:5]
	s_add_i32 s17, s16, -8
	s_add_u32 s4, s4, 8
	s_addc_u32 s5, s5, 0
.LBB2_75:                               ;   in Loop: Header=BB2_28 Depth=1
	s_cmp_gt_u32 s17, 7
	s_cbranch_scc1 .LBB2_79
; %bb.76:                               ;   in Loop: Header=BB2_28 Depth=1
	s_cmp_eq_u32 s17, 0
	s_cbranch_scc1 .LBB2_80
; %bb.77:                               ;   in Loop: Header=BB2_28 Depth=1
	s_mov_b64 s[12:13], 0
	v_pk_mov_b32 v[20:21], 0, 0
	s_mov_b64 s[14:15], s[4:5]
.LBB2_78:                               ;   Parent Loop BB2_28 Depth=1
                                        ; =>  This Inner Loop Header: Depth=2
	global_load_ubyte v2, v27, s[14:15]
	s_add_i32 s17, s17, -1
	s_waitcnt vmcnt(0)
	v_and_b32_e32 v26, 0xffff, v2
	v_lshlrev_b64 v[2:3], s12, v[26:27]
	s_add_u32 s12, s12, 8
	s_addc_u32 s13, s13, 0
	s_add_u32 s14, s14, 1
	s_addc_u32 s15, s15, 0
	v_or_b32_e32 v20, v2, v20
	s_cmp_lg_u32 s17, 0
	v_or_b32_e32 v21, v3, v21
	s_cbranch_scc1 .LBB2_78
	s_branch .LBB2_81
.LBB2_79:                               ;   in Loop: Header=BB2_28 Depth=1
	s_branch .LBB2_82
.LBB2_80:                               ;   in Loop: Header=BB2_28 Depth=1
	v_pk_mov_b32 v[20:21], 0, 0
.LBB2_81:                               ;   in Loop: Header=BB2_28 Depth=1
	s_cbranch_execnz .LBB2_83
.LBB2_82:                               ;   in Loop: Header=BB2_28 Depth=1
	global_load_dwordx2 v[20:21], v27, s[4:5]
.LBB2_83:                               ;   in Loop: Header=BB2_28 Depth=1
	v_readfirstlane_b32 s4, v43
	v_cmp_eq_u32_e64 s[4:5], s4, v43
	v_pk_mov_b32 v[2:3], 0, 0
	s_and_saveexec_b64 s[12:13], s[4:5]
	s_cbranch_execz .LBB2_89
; %bb.84:                               ;   in Loop: Header=BB2_28 Depth=1
	global_load_dwordx2 v[24:25], v27, s[34:35] offset:24 glc
	s_waitcnt vmcnt(0)
	buffer_invl2
	buffer_wbinvl1_vol
	global_load_dwordx2 v[2:3], v27, s[34:35] offset:40
	global_load_dwordx2 v[22:23], v27, s[34:35]
	s_waitcnt vmcnt(1)
	v_and_b32_e32 v2, v2, v24
	v_and_b32_e32 v3, v3, v25
	v_mul_lo_u32 v3, v3, 24
	v_mul_hi_u32 v26, v2, 24
	v_mul_lo_u32 v2, v2, 24
	v_add_u32_e32 v3, v26, v3
	s_waitcnt vmcnt(0)
	v_add_co_u32_e32 v2, vcc, v22, v2
	v_addc_co_u32_e32 v3, vcc, v23, v3, vcc
	global_load_dwordx2 v[22:23], v[2:3], off glc
	s_waitcnt vmcnt(0)
	global_atomic_cmpswap_x2 v[2:3], v27, v[22:25], s[34:35] offset:24 glc
	s_waitcnt vmcnt(0)
	buffer_invl2
	buffer_wbinvl1_vol
	v_cmp_ne_u64_e32 vcc, v[2:3], v[24:25]
	s_and_saveexec_b64 s[14:15], vcc
	s_cbranch_execz .LBB2_88
; %bb.85:                               ;   in Loop: Header=BB2_28 Depth=1
	s_mov_b64 s[16:17], 0
.LBB2_86:                               ;   Parent Loop BB2_28 Depth=1
                                        ; =>  This Inner Loop Header: Depth=2
	s_sleep 1
	global_load_dwordx2 v[22:23], v27, s[34:35] offset:40
	global_load_dwordx2 v[28:29], v27, s[34:35]
	v_pk_mov_b32 v[24:25], v[2:3], v[2:3] op_sel:[0,1]
	s_waitcnt vmcnt(1)
	v_and_b32_e32 v2, v22, v24
	s_waitcnt vmcnt(0)
	v_mad_u64_u32 v[2:3], s[18:19], v2, 24, v[28:29]
	v_and_b32_e32 v23, v23, v25
	v_mov_b32_e32 v22, v3
	v_mad_u64_u32 v[22:23], s[18:19], v23, 24, v[22:23]
	v_mov_b32_e32 v3, v22
	global_load_dwordx2 v[22:23], v[2:3], off glc
	s_waitcnt vmcnt(0)
	global_atomic_cmpswap_x2 v[2:3], v27, v[22:25], s[34:35] offset:24 glc
	s_waitcnt vmcnt(0)
	buffer_invl2
	buffer_wbinvl1_vol
	v_cmp_eq_u64_e32 vcc, v[2:3], v[24:25]
	s_or_b64 s[16:17], vcc, s[16:17]
	s_andn2_b64 exec, exec, s[16:17]
	s_cbranch_execnz .LBB2_86
; %bb.87:                               ;   in Loop: Header=BB2_28 Depth=1
	s_or_b64 exec, exec, s[16:17]
.LBB2_88:                               ;   in Loop: Header=BB2_28 Depth=1
	s_or_b64 exec, exec, s[14:15]
.LBB2_89:                               ;   in Loop: Header=BB2_28 Depth=1
	s_or_b64 exec, exec, s[12:13]
	global_load_dwordx2 v[28:29], v27, s[34:35] offset:40
	global_load_dwordx4 v[22:25], v27, s[34:35]
	v_readfirstlane_b32 s12, v2
	v_readfirstlane_b32 s13, v3
	s_mov_b64 s[14:15], exec
	s_waitcnt vmcnt(1)
	v_readfirstlane_b32 s16, v28
	v_readfirstlane_b32 s17, v29
	s_and_b64 s[16:17], s[12:13], s[16:17]
	s_mul_i32 s18, s17, 24
	s_mul_hi_u32 s19, s16, 24
	s_mul_i32 s20, s16, 24
	s_add_i32 s18, s19, s18
	v_mov_b32_e32 v2, s18
	s_waitcnt vmcnt(0)
	v_add_co_u32_e32 v28, vcc, s20, v22
	v_addc_co_u32_e32 v29, vcc, v23, v2, vcc
	s_and_saveexec_b64 s[18:19], s[4:5]
	s_cbranch_execz .LBB2_91
; %bb.90:                               ;   in Loop: Header=BB2_28 Depth=1
	v_pk_mov_b32 v[2:3], s[14:15], s[14:15] op_sel:[0,1]
	global_store_dwordx4 v[28:29], v[2:5], off offset:8
.LBB2_91:                               ;   in Loop: Header=BB2_28 Depth=1
	s_or_b64 exec, exec, s[18:19]
	s_lshl_b64 s[14:15], s[16:17], 12
	v_mov_b32_e32 v3, s15
	v_add_co_u32_e32 v2, vcc, s14, v24
	v_addc_co_u32_e32 v3, vcc, v25, v3, vcc
	v_or_b32_e32 v24, 2, v6
	v_cmp_gt_u64_e64 vcc, s[8:9], 56
	s_lshl_b32 s14, s10, 2
	v_cndmask_b32_e32 v6, v24, v6, vcc
	s_add_i32 s14, s14, 28
	s_and_b32 s14, s14, 0x1e0
	v_and_b32_e32 v6, 0xffffff1f, v6
	v_or_b32_e32 v6, s14, v6
	v_readfirstlane_b32 s14, v2
	v_readfirstlane_b32 s15, v3
	s_nop 4
	global_store_dwordx4 v42, v[6:9], s[14:15]
	global_store_dwordx4 v42, v[10:13], s[14:15] offset:16
	global_store_dwordx4 v42, v[14:17], s[14:15] offset:32
	;; [unrolled: 1-line block ×3, first 2 shown]
	s_and_saveexec_b64 s[14:15], s[4:5]
	s_cbranch_execz .LBB2_99
; %bb.92:                               ;   in Loop: Header=BB2_28 Depth=1
	global_load_dwordx2 v[14:15], v27, s[34:35] offset:32 glc
	global_load_dwordx2 v[6:7], v27, s[34:35] offset:40
	v_mov_b32_e32 v12, s12
	v_mov_b32_e32 v13, s13
	s_waitcnt vmcnt(0)
	v_readfirstlane_b32 s16, v6
	v_readfirstlane_b32 s17, v7
	s_and_b64 s[16:17], s[16:17], s[12:13]
	s_mul_i32 s17, s17, 24
	s_mul_hi_u32 s18, s16, 24
	s_mul_i32 s16, s16, 24
	s_add_i32 s17, s18, s17
	v_mov_b32_e32 v6, s17
	v_add_co_u32_e32 v10, vcc, s16, v22
	v_addc_co_u32_e32 v11, vcc, v23, v6, vcc
	global_store_dwordx2 v[10:11], v[14:15], off
	buffer_wbl2
	s_waitcnt vmcnt(0)
	global_atomic_cmpswap_x2 v[8:9], v27, v[12:15], s[34:35] offset:32 glc
	s_waitcnt vmcnt(0)
	v_cmp_ne_u64_e32 vcc, v[8:9], v[14:15]
	s_and_saveexec_b64 s[16:17], vcc
	s_cbranch_execz .LBB2_95
; %bb.93:                               ;   in Loop: Header=BB2_28 Depth=1
	s_mov_b64 s[18:19], 0
.LBB2_94:                               ;   Parent Loop BB2_28 Depth=1
                                        ; =>  This Inner Loop Header: Depth=2
	s_sleep 1
	global_store_dwordx2 v[10:11], v[8:9], off
	v_mov_b32_e32 v6, s12
	v_mov_b32_e32 v7, s13
	buffer_wbl2
	s_waitcnt vmcnt(0)
	global_atomic_cmpswap_x2 v[6:7], v27, v[6:9], s[34:35] offset:32 glc
	s_waitcnt vmcnt(0)
	v_cmp_eq_u64_e32 vcc, v[6:7], v[8:9]
	s_or_b64 s[18:19], vcc, s[18:19]
	v_pk_mov_b32 v[8:9], v[6:7], v[6:7] op_sel:[0,1]
	s_andn2_b64 exec, exec, s[18:19]
	s_cbranch_execnz .LBB2_94
.LBB2_95:                               ;   in Loop: Header=BB2_28 Depth=1
	s_or_b64 exec, exec, s[16:17]
	global_load_dwordx2 v[6:7], v27, s[34:35] offset:16
	s_mov_b64 s[18:19], exec
	v_mbcnt_lo_u32_b32 v8, s18, 0
	v_mbcnt_hi_u32_b32 v8, s19, v8
	v_cmp_eq_u32_e32 vcc, 0, v8
	s_and_saveexec_b64 s[16:17], vcc
	s_cbranch_execz .LBB2_97
; %bb.96:                               ;   in Loop: Header=BB2_28 Depth=1
	s_bcnt1_i32_b64 s18, s[18:19]
	v_mov_b32_e32 v26, s18
	buffer_wbl2
	s_waitcnt vmcnt(0)
	global_atomic_add_x2 v[6:7], v[26:27], off offset:8
.LBB2_97:                               ;   in Loop: Header=BB2_28 Depth=1
	s_or_b64 exec, exec, s[16:17]
	s_waitcnt vmcnt(0)
	global_load_dwordx2 v[8:9], v[6:7], off offset:16
	s_waitcnt vmcnt(0)
	v_cmp_eq_u64_e32 vcc, 0, v[8:9]
	s_cbranch_vccnz .LBB2_99
; %bb.98:                               ;   in Loop: Header=BB2_28 Depth=1
	global_load_dword v26, v[6:7], off offset:24
	s_waitcnt vmcnt(0)
	v_and_b32_e32 v6, 0xffffff, v26
	v_readfirstlane_b32 m0, v6
	buffer_wbl2
	global_store_dwordx2 v[8:9], v[26:27], off
	s_sendmsg sendmsg(MSG_INTERRUPT)
.LBB2_99:                               ;   in Loop: Header=BB2_28 Depth=1
	s_or_b64 exec, exec, s[14:15]
	v_add_co_u32_e32 v2, vcc, v2, v42
	v_addc_co_u32_e32 v3, vcc, 0, v3, vcc
	s_branch .LBB2_103
.LBB2_100:                              ;   in Loop: Header=BB2_103 Depth=2
	s_or_b64 exec, exec, s[14:15]
	v_readfirstlane_b32 s14, v6
	s_cmp_eq_u32 s14, 0
	s_cbranch_scc1 .LBB2_102
; %bb.101:                              ;   in Loop: Header=BB2_103 Depth=2
	s_sleep 1
	s_cbranch_execnz .LBB2_103
	s_branch .LBB2_105
.LBB2_102:                              ;   in Loop: Header=BB2_28 Depth=1
	s_branch .LBB2_105
.LBB2_103:                              ;   Parent Loop BB2_28 Depth=1
                                        ; =>  This Inner Loop Header: Depth=2
	v_mov_b32_e32 v6, 1
	s_and_saveexec_b64 s[14:15], s[4:5]
	s_cbranch_execz .LBB2_100
; %bb.104:                              ;   in Loop: Header=BB2_103 Depth=2
	global_load_dword v6, v[28:29], off offset:20 glc
	s_waitcnt vmcnt(0)
	buffer_invl2
	buffer_wbinvl1_vol
	v_and_b32_e32 v6, 1, v6
	s_branch .LBB2_100
.LBB2_105:                              ;   in Loop: Header=BB2_28 Depth=1
	global_load_dwordx4 v[6:9], v[2:3], off
	s_and_saveexec_b64 s[14:15], s[4:5]
	s_cbranch_execz .LBB2_27
; %bb.106:                              ;   in Loop: Header=BB2_28 Depth=1
	global_load_dwordx2 v[2:3], v27, s[34:35] offset:40
	global_load_dwordx2 v[12:13], v27, s[34:35] offset:24 glc
	global_load_dwordx2 v[14:15], v27, s[34:35]
	s_waitcnt vmcnt(3)
	v_mov_b32_e32 v9, s13
	s_waitcnt vmcnt(2)
	v_add_co_u32_e32 v11, vcc, 1, v2
	v_addc_co_u32_e32 v16, vcc, 0, v3, vcc
	v_add_co_u32_e32 v8, vcc, s12, v11
	v_addc_co_u32_e32 v9, vcc, v16, v9, vcc
	v_cmp_eq_u64_e32 vcc, 0, v[8:9]
	v_cndmask_b32_e32 v9, v9, v16, vcc
	v_cndmask_b32_e32 v8, v8, v11, vcc
	v_and_b32_e32 v3, v9, v3
	v_and_b32_e32 v2, v8, v2
	v_mul_lo_u32 v3, v3, 24
	v_mul_hi_u32 v11, v2, 24
	v_mul_lo_u32 v2, v2, 24
	v_add_u32_e32 v3, v11, v3
	s_waitcnt vmcnt(0)
	v_add_co_u32_e32 v2, vcc, v14, v2
	v_addc_co_u32_e32 v3, vcc, v15, v3, vcc
	v_mov_b32_e32 v10, v12
	global_store_dwordx2 v[2:3], v[12:13], off
	v_mov_b32_e32 v11, v13
	buffer_wbl2
	s_waitcnt vmcnt(0)
	global_atomic_cmpswap_x2 v[10:11], v27, v[8:11], s[34:35] offset:24 glc
	s_waitcnt vmcnt(0)
	v_cmp_ne_u64_e32 vcc, v[10:11], v[12:13]
	s_and_b64 exec, exec, vcc
	s_cbranch_execz .LBB2_27
; %bb.107:                              ;   in Loop: Header=BB2_28 Depth=1
	s_mov_b64 s[4:5], 0
.LBB2_108:                              ;   Parent Loop BB2_28 Depth=1
                                        ; =>  This Inner Loop Header: Depth=2
	s_sleep 1
	global_store_dwordx2 v[2:3], v[10:11], off
	buffer_wbl2
	s_waitcnt vmcnt(0)
	global_atomic_cmpswap_x2 v[12:13], v27, v[8:11], s[34:35] offset:24 glc
	s_waitcnt vmcnt(0)
	v_cmp_eq_u64_e32 vcc, v[12:13], v[10:11]
	s_or_b64 s[4:5], vcc, s[4:5]
	v_pk_mov_b32 v[10:11], v[12:13], v[12:13] op_sel:[0,1]
	s_andn2_b64 exec, exec, s[4:5]
	s_cbranch_execnz .LBB2_108
	s_branch .LBB2_27
.LBB2_109:
	s_branch .LBB2_137
.LBB2_110:
	s_cbranch_execz .LBB2_137
; %bb.111:
	v_readfirstlane_b32 s4, v43
	v_cmp_eq_u32_e64 s[4:5], s4, v43
	s_waitcnt vmcnt(0)
	v_pk_mov_b32 v[8:9], 0, 0
	s_and_saveexec_b64 s[6:7], s[4:5]
	s_cbranch_execz .LBB2_117
; %bb.112:
	v_mov_b32_e32 v2, 0
	global_load_dwordx2 v[6:7], v2, s[34:35] offset:24 glc
	s_waitcnt vmcnt(0)
	buffer_invl2
	buffer_wbinvl1_vol
	global_load_dwordx2 v[4:5], v2, s[34:35] offset:40
	global_load_dwordx2 v[8:9], v2, s[34:35]
	s_waitcnt vmcnt(1)
	v_and_b32_e32 v3, v4, v6
	v_and_b32_e32 v4, v5, v7
	v_mul_lo_u32 v4, v4, 24
	v_mul_hi_u32 v5, v3, 24
	v_mul_lo_u32 v3, v3, 24
	v_add_u32_e32 v5, v5, v4
	s_waitcnt vmcnt(0)
	v_add_co_u32_e32 v4, vcc, v8, v3
	v_addc_co_u32_e32 v5, vcc, v9, v5, vcc
	global_load_dwordx2 v[4:5], v[4:5], off glc
	s_waitcnt vmcnt(0)
	global_atomic_cmpswap_x2 v[8:9], v2, v[4:7], s[34:35] offset:24 glc
	s_waitcnt vmcnt(0)
	buffer_invl2
	buffer_wbinvl1_vol
	v_cmp_ne_u64_e32 vcc, v[8:9], v[6:7]
	s_and_saveexec_b64 s[8:9], vcc
	s_cbranch_execz .LBB2_116
; %bb.113:
	s_mov_b64 s[10:11], 0
.LBB2_114:                              ; =>This Inner Loop Header: Depth=1
	s_sleep 1
	global_load_dwordx2 v[4:5], v2, s[34:35] offset:40
	global_load_dwordx2 v[10:11], v2, s[34:35]
	v_pk_mov_b32 v[6:7], v[8:9], v[8:9] op_sel:[0,1]
	s_waitcnt vmcnt(1)
	v_and_b32_e32 v4, v4, v6
	v_and_b32_e32 v3, v5, v7
	s_waitcnt vmcnt(0)
	v_mad_u64_u32 v[4:5], s[12:13], v4, 24, v[10:11]
	v_mov_b32_e32 v8, v5
	v_mad_u64_u32 v[8:9], s[12:13], v3, 24, v[8:9]
	v_mov_b32_e32 v5, v8
	global_load_dwordx2 v[4:5], v[4:5], off glc
	s_waitcnt vmcnt(0)
	global_atomic_cmpswap_x2 v[8:9], v2, v[4:7], s[34:35] offset:24 glc
	s_waitcnt vmcnt(0)
	buffer_invl2
	buffer_wbinvl1_vol
	v_cmp_eq_u64_e32 vcc, v[8:9], v[6:7]
	s_or_b64 s[10:11], vcc, s[10:11]
	s_andn2_b64 exec, exec, s[10:11]
	s_cbranch_execnz .LBB2_114
; %bb.115:
	s_or_b64 exec, exec, s[10:11]
.LBB2_116:
	s_or_b64 exec, exec, s[8:9]
.LBB2_117:
	s_or_b64 exec, exec, s[6:7]
	v_mov_b32_e32 v2, 0
	global_load_dwordx2 v[10:11], v2, s[34:35] offset:40
	global_load_dwordx4 v[4:7], v2, s[34:35]
	v_readfirstlane_b32 s6, v8
	v_readfirstlane_b32 s7, v9
	s_mov_b64 s[8:9], exec
	s_waitcnt vmcnt(1)
	v_readfirstlane_b32 s10, v10
	v_readfirstlane_b32 s11, v11
	s_and_b64 s[10:11], s[6:7], s[10:11]
	s_mul_i32 s12, s11, 24
	s_mul_hi_u32 s13, s10, 24
	s_mul_i32 s14, s10, 24
	s_add_i32 s12, s13, s12
	v_mov_b32_e32 v3, s12
	s_waitcnt vmcnt(0)
	v_add_co_u32_e32 v8, vcc, s14, v4
	v_addc_co_u32_e32 v9, vcc, v5, v3, vcc
	s_and_saveexec_b64 s[12:13], s[4:5]
	s_cbranch_execz .LBB2_119
; %bb.118:
	v_pk_mov_b32 v[10:11], s[8:9], s[8:9] op_sel:[0,1]
	v_mov_b32_e32 v12, 2
	v_mov_b32_e32 v13, 1
	global_store_dwordx4 v[8:9], v[10:13], off offset:8
.LBB2_119:
	s_or_b64 exec, exec, s[12:13]
	s_lshl_b64 s[8:9], s[10:11], 12
	v_mov_b32_e32 v3, s9
	v_add_co_u32_e32 v6, vcc, s8, v6
	s_movk_i32 s8, 0xff1d
	v_addc_co_u32_e32 v7, vcc, v7, v3, vcc
	v_and_or_b32 v0, v0, s8, 34
	s_mov_b32 s8, 0
	v_mov_b32_e32 v3, v2
	v_readfirstlane_b32 s12, v6
	v_readfirstlane_b32 s13, v7
	s_mov_b32 s9, s8
	s_mov_b32 s10, s8
	;; [unrolled: 1-line block ×3, first 2 shown]
	s_nop 1
	global_store_dwordx4 v42, v[0:3], s[12:13]
	s_nop 0
	v_pk_mov_b32 v[0:1], s[8:9], s[8:9] op_sel:[0,1]
	v_pk_mov_b32 v[2:3], s[10:11], s[10:11] op_sel:[0,1]
	global_store_dwordx4 v42, v[0:3], s[12:13] offset:16
	global_store_dwordx4 v42, v[0:3], s[12:13] offset:32
	;; [unrolled: 1-line block ×3, first 2 shown]
	s_and_saveexec_b64 s[8:9], s[4:5]
	s_cbranch_execz .LBB2_127
; %bb.120:
	v_mov_b32_e32 v6, 0
	global_load_dwordx2 v[12:13], v6, s[34:35] offset:32 glc
	global_load_dwordx2 v[0:1], v6, s[34:35] offset:40
	v_mov_b32_e32 v10, s6
	v_mov_b32_e32 v11, s7
	s_waitcnt vmcnt(0)
	v_readfirstlane_b32 s10, v0
	v_readfirstlane_b32 s11, v1
	s_and_b64 s[10:11], s[10:11], s[6:7]
	s_mul_i32 s11, s11, 24
	s_mul_hi_u32 s12, s10, 24
	s_mul_i32 s10, s10, 24
	s_add_i32 s11, s12, s11
	v_mov_b32_e32 v0, s11
	v_add_co_u32_e32 v4, vcc, s10, v4
	v_addc_co_u32_e32 v5, vcc, v5, v0, vcc
	global_store_dwordx2 v[4:5], v[12:13], off
	buffer_wbl2
	s_waitcnt vmcnt(0)
	global_atomic_cmpswap_x2 v[2:3], v6, v[10:13], s[34:35] offset:32 glc
	s_waitcnt vmcnt(0)
	v_cmp_ne_u64_e32 vcc, v[2:3], v[12:13]
	s_and_saveexec_b64 s[10:11], vcc
	s_cbranch_execz .LBB2_123
; %bb.121:
	s_mov_b64 s[12:13], 0
.LBB2_122:                              ; =>This Inner Loop Header: Depth=1
	s_sleep 1
	global_store_dwordx2 v[4:5], v[2:3], off
	v_mov_b32_e32 v0, s6
	v_mov_b32_e32 v1, s7
	buffer_wbl2
	s_waitcnt vmcnt(0)
	global_atomic_cmpswap_x2 v[0:1], v6, v[0:3], s[34:35] offset:32 glc
	s_waitcnt vmcnt(0)
	v_cmp_eq_u64_e32 vcc, v[0:1], v[2:3]
	s_or_b64 s[12:13], vcc, s[12:13]
	v_pk_mov_b32 v[2:3], v[0:1], v[0:1] op_sel:[0,1]
	s_andn2_b64 exec, exec, s[12:13]
	s_cbranch_execnz .LBB2_122
.LBB2_123:
	s_or_b64 exec, exec, s[10:11]
	v_mov_b32_e32 v3, 0
	global_load_dwordx2 v[0:1], v3, s[34:35] offset:16
	s_mov_b64 s[10:11], exec
	v_mbcnt_lo_u32_b32 v2, s10, 0
	v_mbcnt_hi_u32_b32 v2, s11, v2
	v_cmp_eq_u32_e32 vcc, 0, v2
	s_and_saveexec_b64 s[12:13], vcc
	s_cbranch_execz .LBB2_125
; %bb.124:
	s_bcnt1_i32_b64 s10, s[10:11]
	v_mov_b32_e32 v2, s10
	buffer_wbl2
	s_waitcnt vmcnt(0)
	global_atomic_add_x2 v[0:1], v[2:3], off offset:8
.LBB2_125:
	s_or_b64 exec, exec, s[12:13]
	s_waitcnt vmcnt(0)
	global_load_dwordx2 v[2:3], v[0:1], off offset:16
	s_waitcnt vmcnt(0)
	v_cmp_eq_u64_e32 vcc, 0, v[2:3]
	s_cbranch_vccnz .LBB2_127
; %bb.126:
	global_load_dword v0, v[0:1], off offset:24
	v_mov_b32_e32 v1, 0
	buffer_wbl2
	s_waitcnt vmcnt(0)
	global_store_dwordx2 v[2:3], v[0:1], off
	v_and_b32_e32 v0, 0xffffff, v0
	v_readfirstlane_b32 m0, v0
	s_sendmsg sendmsg(MSG_INTERRUPT)
.LBB2_127:
	s_or_b64 exec, exec, s[8:9]
	s_branch .LBB2_131
.LBB2_128:                              ;   in Loop: Header=BB2_131 Depth=1
	s_or_b64 exec, exec, s[8:9]
	v_readfirstlane_b32 s8, v0
	s_cmp_eq_u32 s8, 0
	s_cbranch_scc1 .LBB2_130
; %bb.129:                              ;   in Loop: Header=BB2_131 Depth=1
	s_sleep 1
	s_cbranch_execnz .LBB2_131
	s_branch .LBB2_133
.LBB2_130:
	s_branch .LBB2_133
.LBB2_131:                              ; =>This Inner Loop Header: Depth=1
	v_mov_b32_e32 v0, 1
	s_and_saveexec_b64 s[8:9], s[4:5]
	s_cbranch_execz .LBB2_128
; %bb.132:                              ;   in Loop: Header=BB2_131 Depth=1
	global_load_dword v0, v[8:9], off offset:20 glc
	s_waitcnt vmcnt(0)
	buffer_invl2
	buffer_wbinvl1_vol
	v_and_b32_e32 v0, 1, v0
	s_branch .LBB2_128
.LBB2_133:
	s_and_saveexec_b64 s[8:9], s[4:5]
	s_cbranch_execz .LBB2_136
; %bb.134:
	v_mov_b32_e32 v6, 0
	global_load_dwordx2 v[4:5], v6, s[34:35] offset:40
	global_load_dwordx2 v[8:9], v6, s[34:35] offset:24 glc
	global_load_dwordx2 v[10:11], v6, s[34:35]
	v_mov_b32_e32 v1, s7
	s_mov_b64 s[4:5], 0
	s_waitcnt vmcnt(2)
	v_add_co_u32_e32 v3, vcc, 1, v4
	v_addc_co_u32_e32 v7, vcc, 0, v5, vcc
	v_add_co_u32_e32 v0, vcc, s6, v3
	v_addc_co_u32_e32 v1, vcc, v7, v1, vcc
	v_cmp_eq_u64_e32 vcc, 0, v[0:1]
	v_cndmask_b32_e32 v1, v1, v7, vcc
	v_cndmask_b32_e32 v0, v0, v3, vcc
	v_and_b32_e32 v3, v1, v5
	v_and_b32_e32 v4, v0, v4
	v_mul_lo_u32 v3, v3, 24
	v_mul_hi_u32 v5, v4, 24
	v_mul_lo_u32 v4, v4, 24
	v_add_u32_e32 v3, v5, v3
	s_waitcnt vmcnt(0)
	v_add_co_u32_e32 v4, vcc, v10, v4
	v_addc_co_u32_e32 v5, vcc, v11, v3, vcc
	v_mov_b32_e32 v2, v8
	global_store_dwordx2 v[4:5], v[8:9], off
	v_mov_b32_e32 v3, v9
	buffer_wbl2
	s_waitcnt vmcnt(0)
	global_atomic_cmpswap_x2 v[2:3], v6, v[0:3], s[34:35] offset:24 glc
	s_waitcnt vmcnt(0)
	v_cmp_ne_u64_e32 vcc, v[2:3], v[8:9]
	s_and_b64 exec, exec, vcc
	s_cbranch_execz .LBB2_136
.LBB2_135:                              ; =>This Inner Loop Header: Depth=1
	s_sleep 1
	global_store_dwordx2 v[4:5], v[2:3], off
	buffer_wbl2
	s_waitcnt vmcnt(0)
	global_atomic_cmpswap_x2 v[8:9], v6, v[0:3], s[34:35] offset:24 glc
	s_waitcnt vmcnt(0)
	v_cmp_eq_u64_e32 vcc, v[8:9], v[2:3]
	s_or_b64 s[4:5], vcc, s[4:5]
	v_pk_mov_b32 v[2:3], v[8:9], v[8:9] op_sel:[0,1]
	s_andn2_b64 exec, exec, s[4:5]
	s_cbranch_execnz .LBB2_135
.LBB2_136:
	s_or_b64 exec, exec, s[8:9]
.LBB2_137:
	v_readfirstlane_b32 s4, v43
	v_cmp_eq_u32_e64 s[4:5], s4, v43
	s_waitcnt vmcnt(0)
	v_pk_mov_b32 v[6:7], 0, 0
	s_and_saveexec_b64 s[6:7], s[4:5]
	s_cbranch_execz .LBB2_143
; %bb.138:
	v_mov_b32_e32 v0, 0
	global_load_dwordx2 v[4:5], v0, s[34:35] offset:24 glc
	s_waitcnt vmcnt(0)
	buffer_invl2
	buffer_wbinvl1_vol
	global_load_dwordx2 v[2:3], v0, s[34:35] offset:40
	global_load_dwordx2 v[6:7], v0, s[34:35]
	s_waitcnt vmcnt(1)
	v_and_b32_e32 v1, v2, v4
	v_and_b32_e32 v2, v3, v5
	v_mul_lo_u32 v2, v2, 24
	v_mul_hi_u32 v3, v1, 24
	v_mul_lo_u32 v1, v1, 24
	v_add_u32_e32 v3, v3, v2
	s_waitcnt vmcnt(0)
	v_add_co_u32_e32 v2, vcc, v6, v1
	v_addc_co_u32_e32 v3, vcc, v7, v3, vcc
	global_load_dwordx2 v[2:3], v[2:3], off glc
	s_waitcnt vmcnt(0)
	global_atomic_cmpswap_x2 v[6:7], v0, v[2:5], s[34:35] offset:24 glc
	s_waitcnt vmcnt(0)
	buffer_invl2
	buffer_wbinvl1_vol
	v_cmp_ne_u64_e32 vcc, v[6:7], v[4:5]
	s_and_saveexec_b64 s[8:9], vcc
	s_cbranch_execz .LBB2_142
; %bb.139:
	s_mov_b64 s[10:11], 0
.LBB2_140:                              ; =>This Inner Loop Header: Depth=1
	s_sleep 1
	global_load_dwordx2 v[2:3], v0, s[34:35] offset:40
	global_load_dwordx2 v[8:9], v0, s[34:35]
	v_pk_mov_b32 v[4:5], v[6:7], v[6:7] op_sel:[0,1]
	s_waitcnt vmcnt(1)
	v_and_b32_e32 v2, v2, v4
	v_and_b32_e32 v1, v3, v5
	s_waitcnt vmcnt(0)
	v_mad_u64_u32 v[2:3], s[12:13], v2, 24, v[8:9]
	v_mov_b32_e32 v6, v3
	v_mad_u64_u32 v[6:7], s[12:13], v1, 24, v[6:7]
	v_mov_b32_e32 v3, v6
	global_load_dwordx2 v[2:3], v[2:3], off glc
	s_waitcnt vmcnt(0)
	global_atomic_cmpswap_x2 v[6:7], v0, v[2:5], s[34:35] offset:24 glc
	s_waitcnt vmcnt(0)
	buffer_invl2
	buffer_wbinvl1_vol
	v_cmp_eq_u64_e32 vcc, v[6:7], v[4:5]
	s_or_b64 s[10:11], vcc, s[10:11]
	s_andn2_b64 exec, exec, s[10:11]
	s_cbranch_execnz .LBB2_140
; %bb.141:
	s_or_b64 exec, exec, s[10:11]
.LBB2_142:
	s_or_b64 exec, exec, s[8:9]
.LBB2_143:
	s_or_b64 exec, exec, s[6:7]
	v_mov_b32_e32 v5, 0
	global_load_dwordx2 v[8:9], v5, s[34:35] offset:40
	global_load_dwordx4 v[0:3], v5, s[34:35]
	v_readfirstlane_b32 s6, v6
	v_readfirstlane_b32 s7, v7
	s_mov_b64 s[8:9], exec
	s_waitcnt vmcnt(1)
	v_readfirstlane_b32 s10, v8
	v_readfirstlane_b32 s11, v9
	s_and_b64 s[10:11], s[6:7], s[10:11]
	s_mul_i32 s12, s11, 24
	s_mul_hi_u32 s13, s10, 24
	s_mul_i32 s14, s10, 24
	s_add_i32 s12, s13, s12
	v_mov_b32_e32 v4, s12
	s_waitcnt vmcnt(0)
	v_add_co_u32_e32 v8, vcc, s14, v0
	v_addc_co_u32_e32 v9, vcc, v1, v4, vcc
	s_and_saveexec_b64 s[12:13], s[4:5]
	s_cbranch_execz .LBB2_145
; %bb.144:
	v_pk_mov_b32 v[10:11], s[8:9], s[8:9] op_sel:[0,1]
	v_mov_b32_e32 v12, 2
	v_mov_b32_e32 v13, 1
	global_store_dwordx4 v[8:9], v[10:13], off offset:8
.LBB2_145:
	s_or_b64 exec, exec, s[12:13]
	s_lshl_b64 s[8:9], s[10:11], 12
	v_mov_b32_e32 v4, s9
	v_add_co_u32_e32 v2, vcc, s8, v2
	v_addc_co_u32_e32 v3, vcc, v3, v4, vcc
	s_mov_b32 s8, 0
	v_add_co_u32_e32 v10, vcc, v2, v42
	v_mov_b32_e32 v4, 33
	v_mov_b32_e32 v6, v5
	v_mov_b32_e32 v7, v5
	v_readfirstlane_b32 s12, v2
	v_readfirstlane_b32 s13, v3
	s_mov_b32 s9, s8
	v_addc_co_u32_e32 v11, vcc, 0, v3, vcc
	s_mov_b32 s10, s8
	s_mov_b32 s11, s8
	s_nop 0
	global_store_dwordx4 v42, v[4:7], s[12:13]
	v_pk_mov_b32 v[2:3], s[8:9], s[8:9] op_sel:[0,1]
	v_pk_mov_b32 v[4:5], s[10:11], s[10:11] op_sel:[0,1]
	global_store_dwordx4 v42, v[2:5], s[12:13] offset:16
	global_store_dwordx4 v42, v[2:5], s[12:13] offset:32
	;; [unrolled: 1-line block ×3, first 2 shown]
	s_and_saveexec_b64 s[8:9], s[4:5]
	s_cbranch_execz .LBB2_153
; %bb.146:
	v_mov_b32_e32 v6, 0
	global_load_dwordx2 v[14:15], v6, s[34:35] offset:32 glc
	global_load_dwordx2 v[2:3], v6, s[34:35] offset:40
	v_mov_b32_e32 v12, s6
	v_mov_b32_e32 v13, s7
	s_waitcnt vmcnt(0)
	v_readfirstlane_b32 s10, v2
	v_readfirstlane_b32 s11, v3
	s_and_b64 s[10:11], s[10:11], s[6:7]
	s_mul_i32 s11, s11, 24
	s_mul_hi_u32 s12, s10, 24
	s_mul_i32 s10, s10, 24
	s_add_i32 s11, s12, s11
	v_mov_b32_e32 v2, s11
	v_add_co_u32_e32 v4, vcc, s10, v0
	v_addc_co_u32_e32 v5, vcc, v1, v2, vcc
	global_store_dwordx2 v[4:5], v[14:15], off
	buffer_wbl2
	s_waitcnt vmcnt(0)
	global_atomic_cmpswap_x2 v[2:3], v6, v[12:15], s[34:35] offset:32 glc
	s_waitcnt vmcnt(0)
	v_cmp_ne_u64_e32 vcc, v[2:3], v[14:15]
	s_and_saveexec_b64 s[10:11], vcc
	s_cbranch_execz .LBB2_149
; %bb.147:
	s_mov_b64 s[12:13], 0
.LBB2_148:                              ; =>This Inner Loop Header: Depth=1
	s_sleep 1
	global_store_dwordx2 v[4:5], v[2:3], off
	v_mov_b32_e32 v0, s6
	v_mov_b32_e32 v1, s7
	buffer_wbl2
	s_waitcnt vmcnt(0)
	global_atomic_cmpswap_x2 v[0:1], v6, v[0:3], s[34:35] offset:32 glc
	s_waitcnt vmcnt(0)
	v_cmp_eq_u64_e32 vcc, v[0:1], v[2:3]
	s_or_b64 s[12:13], vcc, s[12:13]
	v_pk_mov_b32 v[2:3], v[0:1], v[0:1] op_sel:[0,1]
	s_andn2_b64 exec, exec, s[12:13]
	s_cbranch_execnz .LBB2_148
.LBB2_149:
	s_or_b64 exec, exec, s[10:11]
	v_mov_b32_e32 v3, 0
	global_load_dwordx2 v[0:1], v3, s[34:35] offset:16
	s_mov_b64 s[10:11], exec
	v_mbcnt_lo_u32_b32 v2, s10, 0
	v_mbcnt_hi_u32_b32 v2, s11, v2
	v_cmp_eq_u32_e32 vcc, 0, v2
	s_and_saveexec_b64 s[12:13], vcc
	s_cbranch_execz .LBB2_151
; %bb.150:
	s_bcnt1_i32_b64 s10, s[10:11]
	v_mov_b32_e32 v2, s10
	buffer_wbl2
	s_waitcnt vmcnt(0)
	global_atomic_add_x2 v[0:1], v[2:3], off offset:8
.LBB2_151:
	s_or_b64 exec, exec, s[12:13]
	s_waitcnt vmcnt(0)
	global_load_dwordx2 v[2:3], v[0:1], off offset:16
	s_waitcnt vmcnt(0)
	v_cmp_eq_u64_e32 vcc, 0, v[2:3]
	s_cbranch_vccnz .LBB2_153
; %bb.152:
	global_load_dword v0, v[0:1], off offset:24
	v_mov_b32_e32 v1, 0
	buffer_wbl2
	s_waitcnt vmcnt(0)
	global_store_dwordx2 v[2:3], v[0:1], off
	v_and_b32_e32 v0, 0xffffff, v0
	v_readfirstlane_b32 m0, v0
	s_sendmsg sendmsg(MSG_INTERRUPT)
.LBB2_153:
	s_or_b64 exec, exec, s[8:9]
	s_branch .LBB2_157
.LBB2_154:                              ;   in Loop: Header=BB2_157 Depth=1
	s_or_b64 exec, exec, s[8:9]
	v_readfirstlane_b32 s8, v0
	s_cmp_eq_u32 s8, 0
	s_cbranch_scc1 .LBB2_156
; %bb.155:                              ;   in Loop: Header=BB2_157 Depth=1
	s_sleep 1
	s_cbranch_execnz .LBB2_157
	s_branch .LBB2_159
.LBB2_156:
	s_branch .LBB2_159
.LBB2_157:                              ; =>This Inner Loop Header: Depth=1
	v_mov_b32_e32 v0, 1
	s_and_saveexec_b64 s[8:9], s[4:5]
	s_cbranch_execz .LBB2_154
; %bb.158:                              ;   in Loop: Header=BB2_157 Depth=1
	global_load_dword v0, v[8:9], off offset:20 glc
	s_waitcnt vmcnt(0)
	buffer_invl2
	buffer_wbinvl1_vol
	v_and_b32_e32 v0, 1, v0
	s_branch .LBB2_154
.LBB2_159:
	global_load_dwordx2 v[0:1], v[10:11], off
	s_and_saveexec_b64 s[8:9], s[4:5]
	s_cbranch_execz .LBB2_162
; %bb.160:
	v_mov_b32_e32 v8, 0
	global_load_dwordx2 v[6:7], v8, s[34:35] offset:40
	global_load_dwordx2 v[10:11], v8, s[34:35] offset:24 glc
	global_load_dwordx2 v[12:13], v8, s[34:35]
	v_mov_b32_e32 v3, s7
	s_mov_b64 s[4:5], 0
	s_waitcnt vmcnt(2)
	v_add_co_u32_e32 v5, vcc, 1, v6
	v_addc_co_u32_e32 v9, vcc, 0, v7, vcc
	v_add_co_u32_e32 v2, vcc, s6, v5
	v_addc_co_u32_e32 v3, vcc, v9, v3, vcc
	v_cmp_eq_u64_e32 vcc, 0, v[2:3]
	v_cndmask_b32_e32 v3, v3, v9, vcc
	v_cndmask_b32_e32 v2, v2, v5, vcc
	v_and_b32_e32 v5, v3, v7
	v_and_b32_e32 v6, v2, v6
	v_mul_lo_u32 v5, v5, 24
	v_mul_hi_u32 v7, v6, 24
	v_mul_lo_u32 v6, v6, 24
	v_add_u32_e32 v5, v7, v5
	s_waitcnt vmcnt(0)
	v_add_co_u32_e32 v6, vcc, v12, v6
	v_addc_co_u32_e32 v7, vcc, v13, v5, vcc
	v_mov_b32_e32 v4, v10
	global_store_dwordx2 v[6:7], v[10:11], off
	v_mov_b32_e32 v5, v11
	buffer_wbl2
	s_waitcnt vmcnt(0)
	global_atomic_cmpswap_x2 v[4:5], v8, v[2:5], s[34:35] offset:24 glc
	s_waitcnt vmcnt(0)
	v_cmp_ne_u64_e32 vcc, v[4:5], v[10:11]
	s_and_b64 exec, exec, vcc
	s_cbranch_execz .LBB2_162
.LBB2_161:                              ; =>This Inner Loop Header: Depth=1
	s_sleep 1
	global_store_dwordx2 v[6:7], v[4:5], off
	buffer_wbl2
	s_waitcnt vmcnt(0)
	global_atomic_cmpswap_x2 v[10:11], v8, v[2:5], s[34:35] offset:24 glc
	s_waitcnt vmcnt(0)
	v_cmp_eq_u64_e32 vcc, v[10:11], v[4:5]
	s_or_b64 s[4:5], vcc, s[4:5]
	v_pk_mov_b32 v[4:5], v[10:11], v[10:11] op_sel:[0,1]
	s_andn2_b64 exec, exec, s[4:5]
	s_cbranch_execnz .LBB2_161
.LBB2_162:
	s_or_b64 exec, exec, s[8:9]
	s_getpc_b64 s[6:7]
	s_add_u32 s6, s6, .str@rel32@lo+4
	s_addc_u32 s7, s7, .str@rel32@hi+12
	s_cmp_lg_u64 s[6:7], 0
	s_cbranch_scc0 .LBB2_248
; %bb.163:
	s_waitcnt vmcnt(0)
	v_and_b32_e32 v6, -3, v0
	v_mov_b32_e32 v7, v1
	s_mov_b64 s[8:9], 18
	v_mov_b32_e32 v27, 0
	v_mov_b32_e32 v4, 2
	v_mov_b32_e32 v5, 1
	s_branch .LBB2_165
.LBB2_164:                              ;   in Loop: Header=BB2_165 Depth=1
	s_or_b64 exec, exec, s[14:15]
	s_sub_u32 s8, s8, s10
	s_subb_u32 s9, s9, s11
	s_add_u32 s6, s6, s10
	s_addc_u32 s7, s7, s11
	s_cmp_lg_u64 s[8:9], 0
	s_cbranch_scc0 .LBB2_246
.LBB2_165:                              ; =>This Loop Header: Depth=1
                                        ;     Child Loop BB2_168 Depth 2
                                        ;     Child Loop BB2_175 Depth 2
	;; [unrolled: 1-line block ×11, first 2 shown]
	v_cmp_lt_u64_e64 s[4:5], s[8:9], 56
	s_and_b64 s[4:5], s[4:5], exec
	v_cmp_gt_u64_e64 s[4:5], s[8:9], 7
	s_cselect_b32 s11, s9, 0
	s_cselect_b32 s10, s8, 56
	s_and_b64 vcc, exec, s[4:5]
	s_cbranch_vccnz .LBB2_170
; %bb.166:                              ;   in Loop: Header=BB2_165 Depth=1
	s_mov_b64 s[4:5], 0
	s_cmp_eq_u64 s[8:9], 0
	s_waitcnt vmcnt(0)
	v_pk_mov_b32 v[8:9], 0, 0
	s_cbranch_scc1 .LBB2_169
; %bb.167:                              ;   in Loop: Header=BB2_165 Depth=1
	s_lshl_b64 s[12:13], s[10:11], 3
	s_mov_b64 s[14:15], 0
	v_pk_mov_b32 v[8:9], 0, 0
	s_mov_b64 s[16:17], s[6:7]
.LBB2_168:                              ;   Parent Loop BB2_165 Depth=1
                                        ; =>  This Inner Loop Header: Depth=2
	global_load_ubyte v2, v27, s[16:17]
	s_waitcnt vmcnt(0)
	v_and_b32_e32 v26, 0xffff, v2
	v_lshlrev_b64 v[2:3], s14, v[26:27]
	s_add_u32 s14, s14, 8
	s_addc_u32 s15, s15, 0
	s_add_u32 s16, s16, 1
	s_addc_u32 s17, s17, 0
	v_or_b32_e32 v8, v2, v8
	s_cmp_lg_u32 s12, s14
	v_or_b32_e32 v9, v3, v9
	s_cbranch_scc1 .LBB2_168
.LBB2_169:                              ;   in Loop: Header=BB2_165 Depth=1
	s_mov_b32 s16, 0
	s_andn2_b64 vcc, exec, s[4:5]
	s_mov_b64 s[4:5], s[6:7]
	s_cbranch_vccz .LBB2_171
	s_branch .LBB2_172
.LBB2_170:                              ;   in Loop: Header=BB2_165 Depth=1
                                        ; implicit-def: $sgpr16
	s_mov_b64 s[4:5], s[6:7]
.LBB2_171:                              ;   in Loop: Header=BB2_165 Depth=1
	global_load_dwordx2 v[8:9], v27, s[6:7]
	s_add_i32 s16, s10, -8
	s_add_u32 s4, s6, 8
	s_addc_u32 s5, s7, 0
.LBB2_172:                              ;   in Loop: Header=BB2_165 Depth=1
	s_cmp_gt_u32 s16, 7
	s_cbranch_scc1 .LBB2_176
; %bb.173:                              ;   in Loop: Header=BB2_165 Depth=1
	s_cmp_eq_u32 s16, 0
	s_cbranch_scc1 .LBB2_177
; %bb.174:                              ;   in Loop: Header=BB2_165 Depth=1
	s_mov_b64 s[12:13], 0
	v_pk_mov_b32 v[10:11], 0, 0
	s_mov_b64 s[14:15], 0
.LBB2_175:                              ;   Parent Loop BB2_165 Depth=1
                                        ; =>  This Inner Loop Header: Depth=2
	s_add_u32 s18, s4, s14
	s_addc_u32 s19, s5, s15
	global_load_ubyte v2, v27, s[18:19]
	s_add_u32 s14, s14, 1
	s_addc_u32 s15, s15, 0
	s_waitcnt vmcnt(0)
	v_and_b32_e32 v26, 0xffff, v2
	v_lshlrev_b64 v[2:3], s12, v[26:27]
	s_add_u32 s12, s12, 8
	s_addc_u32 s13, s13, 0
	v_or_b32_e32 v10, v2, v10
	s_cmp_lg_u32 s16, s14
	v_or_b32_e32 v11, v3, v11
	s_cbranch_scc1 .LBB2_175
	s_branch .LBB2_178
.LBB2_176:                              ;   in Loop: Header=BB2_165 Depth=1
                                        ; implicit-def: $vgpr10_vgpr11
                                        ; implicit-def: $sgpr17
	s_branch .LBB2_179
.LBB2_177:                              ;   in Loop: Header=BB2_165 Depth=1
	v_pk_mov_b32 v[10:11], 0, 0
.LBB2_178:                              ;   in Loop: Header=BB2_165 Depth=1
	s_mov_b32 s17, 0
	s_cbranch_execnz .LBB2_180
.LBB2_179:                              ;   in Loop: Header=BB2_165 Depth=1
	global_load_dwordx2 v[10:11], v27, s[4:5]
	s_add_i32 s17, s16, -8
	s_add_u32 s4, s4, 8
	s_addc_u32 s5, s5, 0
.LBB2_180:                              ;   in Loop: Header=BB2_165 Depth=1
	s_cmp_gt_u32 s17, 7
	s_cbranch_scc1 .LBB2_184
; %bb.181:                              ;   in Loop: Header=BB2_165 Depth=1
	s_cmp_eq_u32 s17, 0
	s_cbranch_scc1 .LBB2_185
; %bb.182:                              ;   in Loop: Header=BB2_165 Depth=1
	s_mov_b64 s[12:13], 0
	v_pk_mov_b32 v[12:13], 0, 0
	s_mov_b64 s[14:15], 0
.LBB2_183:                              ;   Parent Loop BB2_165 Depth=1
                                        ; =>  This Inner Loop Header: Depth=2
	s_add_u32 s18, s4, s14
	s_addc_u32 s19, s5, s15
	global_load_ubyte v2, v27, s[18:19]
	s_add_u32 s14, s14, 1
	s_addc_u32 s15, s15, 0
	s_waitcnt vmcnt(0)
	v_and_b32_e32 v26, 0xffff, v2
	v_lshlrev_b64 v[2:3], s12, v[26:27]
	s_add_u32 s12, s12, 8
	s_addc_u32 s13, s13, 0
	v_or_b32_e32 v12, v2, v12
	s_cmp_lg_u32 s17, s14
	v_or_b32_e32 v13, v3, v13
	s_cbranch_scc1 .LBB2_183
	s_branch .LBB2_186
.LBB2_184:                              ;   in Loop: Header=BB2_165 Depth=1
                                        ; implicit-def: $sgpr16
	s_branch .LBB2_187
.LBB2_185:                              ;   in Loop: Header=BB2_165 Depth=1
	v_pk_mov_b32 v[12:13], 0, 0
.LBB2_186:                              ;   in Loop: Header=BB2_165 Depth=1
	s_mov_b32 s16, 0
	s_cbranch_execnz .LBB2_188
.LBB2_187:                              ;   in Loop: Header=BB2_165 Depth=1
	global_load_dwordx2 v[12:13], v27, s[4:5]
	s_add_i32 s16, s17, -8
	s_add_u32 s4, s4, 8
	s_addc_u32 s5, s5, 0
.LBB2_188:                              ;   in Loop: Header=BB2_165 Depth=1
	s_cmp_gt_u32 s16, 7
	s_cbranch_scc1 .LBB2_192
; %bb.189:                              ;   in Loop: Header=BB2_165 Depth=1
	s_cmp_eq_u32 s16, 0
	s_cbranch_scc1 .LBB2_193
; %bb.190:                              ;   in Loop: Header=BB2_165 Depth=1
	s_mov_b64 s[12:13], 0
	v_pk_mov_b32 v[14:15], 0, 0
	s_mov_b64 s[14:15], 0
.LBB2_191:                              ;   Parent Loop BB2_165 Depth=1
                                        ; =>  This Inner Loop Header: Depth=2
	s_add_u32 s18, s4, s14
	s_addc_u32 s19, s5, s15
	global_load_ubyte v2, v27, s[18:19]
	s_add_u32 s14, s14, 1
	s_addc_u32 s15, s15, 0
	s_waitcnt vmcnt(0)
	v_and_b32_e32 v26, 0xffff, v2
	v_lshlrev_b64 v[2:3], s12, v[26:27]
	s_add_u32 s12, s12, 8
	s_addc_u32 s13, s13, 0
	v_or_b32_e32 v14, v2, v14
	s_cmp_lg_u32 s16, s14
	v_or_b32_e32 v15, v3, v15
	s_cbranch_scc1 .LBB2_191
	s_branch .LBB2_194
.LBB2_192:                              ;   in Loop: Header=BB2_165 Depth=1
                                        ; implicit-def: $vgpr14_vgpr15
                                        ; implicit-def: $sgpr17
	s_branch .LBB2_195
.LBB2_193:                              ;   in Loop: Header=BB2_165 Depth=1
	v_pk_mov_b32 v[14:15], 0, 0
.LBB2_194:                              ;   in Loop: Header=BB2_165 Depth=1
	s_mov_b32 s17, 0
	s_cbranch_execnz .LBB2_196
.LBB2_195:                              ;   in Loop: Header=BB2_165 Depth=1
	global_load_dwordx2 v[14:15], v27, s[4:5]
	s_add_i32 s17, s16, -8
	s_add_u32 s4, s4, 8
	s_addc_u32 s5, s5, 0
.LBB2_196:                              ;   in Loop: Header=BB2_165 Depth=1
	s_cmp_gt_u32 s17, 7
	s_cbranch_scc1 .LBB2_200
; %bb.197:                              ;   in Loop: Header=BB2_165 Depth=1
	s_cmp_eq_u32 s17, 0
	s_cbranch_scc1 .LBB2_201
; %bb.198:                              ;   in Loop: Header=BB2_165 Depth=1
	s_mov_b64 s[12:13], 0
	v_pk_mov_b32 v[16:17], 0, 0
	s_mov_b64 s[14:15], 0
.LBB2_199:                              ;   Parent Loop BB2_165 Depth=1
                                        ; =>  This Inner Loop Header: Depth=2
	s_add_u32 s18, s4, s14
	s_addc_u32 s19, s5, s15
	global_load_ubyte v2, v27, s[18:19]
	s_add_u32 s14, s14, 1
	s_addc_u32 s15, s15, 0
	s_waitcnt vmcnt(0)
	v_and_b32_e32 v26, 0xffff, v2
	v_lshlrev_b64 v[2:3], s12, v[26:27]
	s_add_u32 s12, s12, 8
	s_addc_u32 s13, s13, 0
	v_or_b32_e32 v16, v2, v16
	s_cmp_lg_u32 s17, s14
	v_or_b32_e32 v17, v3, v17
	s_cbranch_scc1 .LBB2_199
	s_branch .LBB2_202
.LBB2_200:                              ;   in Loop: Header=BB2_165 Depth=1
                                        ; implicit-def: $sgpr16
	s_branch .LBB2_203
.LBB2_201:                              ;   in Loop: Header=BB2_165 Depth=1
	v_pk_mov_b32 v[16:17], 0, 0
.LBB2_202:                              ;   in Loop: Header=BB2_165 Depth=1
	s_mov_b32 s16, 0
	s_cbranch_execnz .LBB2_204
.LBB2_203:                              ;   in Loop: Header=BB2_165 Depth=1
	global_load_dwordx2 v[16:17], v27, s[4:5]
	s_add_i32 s16, s17, -8
	s_add_u32 s4, s4, 8
	s_addc_u32 s5, s5, 0
.LBB2_204:                              ;   in Loop: Header=BB2_165 Depth=1
	s_cmp_gt_u32 s16, 7
	s_cbranch_scc1 .LBB2_208
; %bb.205:                              ;   in Loop: Header=BB2_165 Depth=1
	s_cmp_eq_u32 s16, 0
	s_cbranch_scc1 .LBB2_209
; %bb.206:                              ;   in Loop: Header=BB2_165 Depth=1
	s_mov_b64 s[12:13], 0
	v_pk_mov_b32 v[18:19], 0, 0
	s_mov_b64 s[14:15], 0
.LBB2_207:                              ;   Parent Loop BB2_165 Depth=1
                                        ; =>  This Inner Loop Header: Depth=2
	s_add_u32 s18, s4, s14
	s_addc_u32 s19, s5, s15
	global_load_ubyte v2, v27, s[18:19]
	s_add_u32 s14, s14, 1
	s_addc_u32 s15, s15, 0
	s_waitcnt vmcnt(0)
	v_and_b32_e32 v26, 0xffff, v2
	v_lshlrev_b64 v[2:3], s12, v[26:27]
	s_add_u32 s12, s12, 8
	s_addc_u32 s13, s13, 0
	v_or_b32_e32 v18, v2, v18
	s_cmp_lg_u32 s16, s14
	v_or_b32_e32 v19, v3, v19
	s_cbranch_scc1 .LBB2_207
	s_branch .LBB2_210
.LBB2_208:                              ;   in Loop: Header=BB2_165 Depth=1
                                        ; implicit-def: $vgpr18_vgpr19
                                        ; implicit-def: $sgpr17
	s_branch .LBB2_211
.LBB2_209:                              ;   in Loop: Header=BB2_165 Depth=1
	v_pk_mov_b32 v[18:19], 0, 0
.LBB2_210:                              ;   in Loop: Header=BB2_165 Depth=1
	s_mov_b32 s17, 0
	s_cbranch_execnz .LBB2_212
.LBB2_211:                              ;   in Loop: Header=BB2_165 Depth=1
	global_load_dwordx2 v[18:19], v27, s[4:5]
	s_add_i32 s17, s16, -8
	s_add_u32 s4, s4, 8
	s_addc_u32 s5, s5, 0
.LBB2_212:                              ;   in Loop: Header=BB2_165 Depth=1
	s_cmp_gt_u32 s17, 7
	s_cbranch_scc1 .LBB2_216
; %bb.213:                              ;   in Loop: Header=BB2_165 Depth=1
	s_cmp_eq_u32 s17, 0
	s_cbranch_scc1 .LBB2_217
; %bb.214:                              ;   in Loop: Header=BB2_165 Depth=1
	s_mov_b64 s[12:13], 0
	v_pk_mov_b32 v[20:21], 0, 0
	s_mov_b64 s[14:15], s[4:5]
.LBB2_215:                              ;   Parent Loop BB2_165 Depth=1
                                        ; =>  This Inner Loop Header: Depth=2
	global_load_ubyte v2, v27, s[14:15]
	s_add_i32 s17, s17, -1
	s_waitcnt vmcnt(0)
	v_and_b32_e32 v26, 0xffff, v2
	v_lshlrev_b64 v[2:3], s12, v[26:27]
	s_add_u32 s12, s12, 8
	s_addc_u32 s13, s13, 0
	s_add_u32 s14, s14, 1
	s_addc_u32 s15, s15, 0
	v_or_b32_e32 v20, v2, v20
	s_cmp_lg_u32 s17, 0
	v_or_b32_e32 v21, v3, v21
	s_cbranch_scc1 .LBB2_215
	s_branch .LBB2_218
.LBB2_216:                              ;   in Loop: Header=BB2_165 Depth=1
	s_branch .LBB2_219
.LBB2_217:                              ;   in Loop: Header=BB2_165 Depth=1
	v_pk_mov_b32 v[20:21], 0, 0
.LBB2_218:                              ;   in Loop: Header=BB2_165 Depth=1
	s_cbranch_execnz .LBB2_220
.LBB2_219:                              ;   in Loop: Header=BB2_165 Depth=1
	global_load_dwordx2 v[20:21], v27, s[4:5]
.LBB2_220:                              ;   in Loop: Header=BB2_165 Depth=1
	v_readfirstlane_b32 s4, v43
	v_cmp_eq_u32_e64 s[4:5], s4, v43
	v_pk_mov_b32 v[2:3], 0, 0
	s_and_saveexec_b64 s[12:13], s[4:5]
	s_cbranch_execz .LBB2_226
; %bb.221:                              ;   in Loop: Header=BB2_165 Depth=1
	global_load_dwordx2 v[24:25], v27, s[34:35] offset:24 glc
	s_waitcnt vmcnt(0)
	buffer_invl2
	buffer_wbinvl1_vol
	global_load_dwordx2 v[2:3], v27, s[34:35] offset:40
	global_load_dwordx2 v[22:23], v27, s[34:35]
	s_waitcnt vmcnt(1)
	v_and_b32_e32 v2, v2, v24
	v_and_b32_e32 v3, v3, v25
	v_mul_lo_u32 v3, v3, 24
	v_mul_hi_u32 v26, v2, 24
	v_mul_lo_u32 v2, v2, 24
	v_add_u32_e32 v3, v26, v3
	s_waitcnt vmcnt(0)
	v_add_co_u32_e32 v2, vcc, v22, v2
	v_addc_co_u32_e32 v3, vcc, v23, v3, vcc
	global_load_dwordx2 v[22:23], v[2:3], off glc
	s_waitcnt vmcnt(0)
	global_atomic_cmpswap_x2 v[2:3], v27, v[22:25], s[34:35] offset:24 glc
	s_waitcnt vmcnt(0)
	buffer_invl2
	buffer_wbinvl1_vol
	v_cmp_ne_u64_e32 vcc, v[2:3], v[24:25]
	s_and_saveexec_b64 s[14:15], vcc
	s_cbranch_execz .LBB2_225
; %bb.222:                              ;   in Loop: Header=BB2_165 Depth=1
	s_mov_b64 s[16:17], 0
.LBB2_223:                              ;   Parent Loop BB2_165 Depth=1
                                        ; =>  This Inner Loop Header: Depth=2
	s_sleep 1
	global_load_dwordx2 v[22:23], v27, s[34:35] offset:40
	global_load_dwordx2 v[28:29], v27, s[34:35]
	v_pk_mov_b32 v[24:25], v[2:3], v[2:3] op_sel:[0,1]
	s_waitcnt vmcnt(1)
	v_and_b32_e32 v2, v22, v24
	s_waitcnt vmcnt(0)
	v_mad_u64_u32 v[2:3], s[18:19], v2, 24, v[28:29]
	v_and_b32_e32 v23, v23, v25
	v_mov_b32_e32 v22, v3
	v_mad_u64_u32 v[22:23], s[18:19], v23, 24, v[22:23]
	v_mov_b32_e32 v3, v22
	global_load_dwordx2 v[22:23], v[2:3], off glc
	s_waitcnt vmcnt(0)
	global_atomic_cmpswap_x2 v[2:3], v27, v[22:25], s[34:35] offset:24 glc
	s_waitcnt vmcnt(0)
	buffer_invl2
	buffer_wbinvl1_vol
	v_cmp_eq_u64_e32 vcc, v[2:3], v[24:25]
	s_or_b64 s[16:17], vcc, s[16:17]
	s_andn2_b64 exec, exec, s[16:17]
	s_cbranch_execnz .LBB2_223
; %bb.224:                              ;   in Loop: Header=BB2_165 Depth=1
	s_or_b64 exec, exec, s[16:17]
.LBB2_225:                              ;   in Loop: Header=BB2_165 Depth=1
	s_or_b64 exec, exec, s[14:15]
.LBB2_226:                              ;   in Loop: Header=BB2_165 Depth=1
	s_or_b64 exec, exec, s[12:13]
	global_load_dwordx2 v[28:29], v27, s[34:35] offset:40
	global_load_dwordx4 v[22:25], v27, s[34:35]
	v_readfirstlane_b32 s12, v2
	v_readfirstlane_b32 s13, v3
	s_mov_b64 s[14:15], exec
	s_waitcnt vmcnt(1)
	v_readfirstlane_b32 s16, v28
	v_readfirstlane_b32 s17, v29
	s_and_b64 s[16:17], s[12:13], s[16:17]
	s_mul_i32 s18, s17, 24
	s_mul_hi_u32 s19, s16, 24
	s_mul_i32 s20, s16, 24
	s_add_i32 s18, s19, s18
	v_mov_b32_e32 v2, s18
	s_waitcnt vmcnt(0)
	v_add_co_u32_e32 v28, vcc, s20, v22
	v_addc_co_u32_e32 v29, vcc, v23, v2, vcc
	s_and_saveexec_b64 s[18:19], s[4:5]
	s_cbranch_execz .LBB2_228
; %bb.227:                              ;   in Loop: Header=BB2_165 Depth=1
	v_pk_mov_b32 v[2:3], s[14:15], s[14:15] op_sel:[0,1]
	global_store_dwordx4 v[28:29], v[2:5], off offset:8
.LBB2_228:                              ;   in Loop: Header=BB2_165 Depth=1
	s_or_b64 exec, exec, s[18:19]
	s_lshl_b64 s[14:15], s[16:17], 12
	v_mov_b32_e32 v3, s15
	v_add_co_u32_e32 v2, vcc, s14, v24
	v_addc_co_u32_e32 v3, vcc, v25, v3, vcc
	v_or_b32_e32 v24, 2, v6
	v_cmp_gt_u64_e64 vcc, s[8:9], 56
	s_lshl_b32 s14, s10, 2
	v_cndmask_b32_e32 v6, v24, v6, vcc
	s_add_i32 s14, s14, 28
	s_and_b32 s14, s14, 0x1e0
	v_and_b32_e32 v6, 0xffffff1f, v6
	v_or_b32_e32 v6, s14, v6
	v_readfirstlane_b32 s14, v2
	v_readfirstlane_b32 s15, v3
	s_nop 4
	global_store_dwordx4 v42, v[6:9], s[14:15]
	global_store_dwordx4 v42, v[10:13], s[14:15] offset:16
	global_store_dwordx4 v42, v[14:17], s[14:15] offset:32
	;; [unrolled: 1-line block ×3, first 2 shown]
	s_and_saveexec_b64 s[14:15], s[4:5]
	s_cbranch_execz .LBB2_236
; %bb.229:                              ;   in Loop: Header=BB2_165 Depth=1
	global_load_dwordx2 v[14:15], v27, s[34:35] offset:32 glc
	global_load_dwordx2 v[6:7], v27, s[34:35] offset:40
	v_mov_b32_e32 v12, s12
	v_mov_b32_e32 v13, s13
	s_waitcnt vmcnt(0)
	v_readfirstlane_b32 s16, v6
	v_readfirstlane_b32 s17, v7
	s_and_b64 s[16:17], s[16:17], s[12:13]
	s_mul_i32 s17, s17, 24
	s_mul_hi_u32 s18, s16, 24
	s_mul_i32 s16, s16, 24
	s_add_i32 s17, s18, s17
	v_mov_b32_e32 v6, s17
	v_add_co_u32_e32 v10, vcc, s16, v22
	v_addc_co_u32_e32 v11, vcc, v23, v6, vcc
	global_store_dwordx2 v[10:11], v[14:15], off
	buffer_wbl2
	s_waitcnt vmcnt(0)
	global_atomic_cmpswap_x2 v[8:9], v27, v[12:15], s[34:35] offset:32 glc
	s_waitcnt vmcnt(0)
	v_cmp_ne_u64_e32 vcc, v[8:9], v[14:15]
	s_and_saveexec_b64 s[16:17], vcc
	s_cbranch_execz .LBB2_232
; %bb.230:                              ;   in Loop: Header=BB2_165 Depth=1
	s_mov_b64 s[18:19], 0
.LBB2_231:                              ;   Parent Loop BB2_165 Depth=1
                                        ; =>  This Inner Loop Header: Depth=2
	s_sleep 1
	global_store_dwordx2 v[10:11], v[8:9], off
	v_mov_b32_e32 v6, s12
	v_mov_b32_e32 v7, s13
	buffer_wbl2
	s_waitcnt vmcnt(0)
	global_atomic_cmpswap_x2 v[6:7], v27, v[6:9], s[34:35] offset:32 glc
	s_waitcnt vmcnt(0)
	v_cmp_eq_u64_e32 vcc, v[6:7], v[8:9]
	s_or_b64 s[18:19], vcc, s[18:19]
	v_pk_mov_b32 v[8:9], v[6:7], v[6:7] op_sel:[0,1]
	s_andn2_b64 exec, exec, s[18:19]
	s_cbranch_execnz .LBB2_231
.LBB2_232:                              ;   in Loop: Header=BB2_165 Depth=1
	s_or_b64 exec, exec, s[16:17]
	global_load_dwordx2 v[6:7], v27, s[34:35] offset:16
	s_mov_b64 s[18:19], exec
	v_mbcnt_lo_u32_b32 v8, s18, 0
	v_mbcnt_hi_u32_b32 v8, s19, v8
	v_cmp_eq_u32_e32 vcc, 0, v8
	s_and_saveexec_b64 s[16:17], vcc
	s_cbranch_execz .LBB2_234
; %bb.233:                              ;   in Loop: Header=BB2_165 Depth=1
	s_bcnt1_i32_b64 s18, s[18:19]
	v_mov_b32_e32 v26, s18
	buffer_wbl2
	s_waitcnt vmcnt(0)
	global_atomic_add_x2 v[6:7], v[26:27], off offset:8
.LBB2_234:                              ;   in Loop: Header=BB2_165 Depth=1
	s_or_b64 exec, exec, s[16:17]
	s_waitcnt vmcnt(0)
	global_load_dwordx2 v[8:9], v[6:7], off offset:16
	s_waitcnt vmcnt(0)
	v_cmp_eq_u64_e32 vcc, 0, v[8:9]
	s_cbranch_vccnz .LBB2_236
; %bb.235:                              ;   in Loop: Header=BB2_165 Depth=1
	global_load_dword v26, v[6:7], off offset:24
	s_waitcnt vmcnt(0)
	v_and_b32_e32 v6, 0xffffff, v26
	v_readfirstlane_b32 m0, v6
	buffer_wbl2
	global_store_dwordx2 v[8:9], v[26:27], off
	s_sendmsg sendmsg(MSG_INTERRUPT)
.LBB2_236:                              ;   in Loop: Header=BB2_165 Depth=1
	s_or_b64 exec, exec, s[14:15]
	v_add_co_u32_e32 v2, vcc, v2, v42
	v_addc_co_u32_e32 v3, vcc, 0, v3, vcc
	s_branch .LBB2_240
.LBB2_237:                              ;   in Loop: Header=BB2_240 Depth=2
	s_or_b64 exec, exec, s[14:15]
	v_readfirstlane_b32 s14, v6
	s_cmp_eq_u32 s14, 0
	s_cbranch_scc1 .LBB2_239
; %bb.238:                              ;   in Loop: Header=BB2_240 Depth=2
	s_sleep 1
	s_cbranch_execnz .LBB2_240
	s_branch .LBB2_242
.LBB2_239:                              ;   in Loop: Header=BB2_165 Depth=1
	s_branch .LBB2_242
.LBB2_240:                              ;   Parent Loop BB2_165 Depth=1
                                        ; =>  This Inner Loop Header: Depth=2
	v_mov_b32_e32 v6, 1
	s_and_saveexec_b64 s[14:15], s[4:5]
	s_cbranch_execz .LBB2_237
; %bb.241:                              ;   in Loop: Header=BB2_240 Depth=2
	global_load_dword v6, v[28:29], off offset:20 glc
	s_waitcnt vmcnt(0)
	buffer_invl2
	buffer_wbinvl1_vol
	v_and_b32_e32 v6, 1, v6
	s_branch .LBB2_237
.LBB2_242:                              ;   in Loop: Header=BB2_165 Depth=1
	global_load_dwordx4 v[6:9], v[2:3], off
	s_and_saveexec_b64 s[14:15], s[4:5]
	s_cbranch_execz .LBB2_164
; %bb.243:                              ;   in Loop: Header=BB2_165 Depth=1
	global_load_dwordx2 v[2:3], v27, s[34:35] offset:40
	global_load_dwordx2 v[12:13], v27, s[34:35] offset:24 glc
	global_load_dwordx2 v[14:15], v27, s[34:35]
	s_waitcnt vmcnt(3)
	v_mov_b32_e32 v9, s13
	s_waitcnt vmcnt(2)
	v_add_co_u32_e32 v11, vcc, 1, v2
	v_addc_co_u32_e32 v16, vcc, 0, v3, vcc
	v_add_co_u32_e32 v8, vcc, s12, v11
	v_addc_co_u32_e32 v9, vcc, v16, v9, vcc
	v_cmp_eq_u64_e32 vcc, 0, v[8:9]
	v_cndmask_b32_e32 v9, v9, v16, vcc
	v_cndmask_b32_e32 v8, v8, v11, vcc
	v_and_b32_e32 v3, v9, v3
	v_and_b32_e32 v2, v8, v2
	v_mul_lo_u32 v3, v3, 24
	v_mul_hi_u32 v11, v2, 24
	v_mul_lo_u32 v2, v2, 24
	v_add_u32_e32 v3, v11, v3
	s_waitcnt vmcnt(0)
	v_add_co_u32_e32 v2, vcc, v14, v2
	v_addc_co_u32_e32 v3, vcc, v15, v3, vcc
	v_mov_b32_e32 v10, v12
	global_store_dwordx2 v[2:3], v[12:13], off
	v_mov_b32_e32 v11, v13
	buffer_wbl2
	s_waitcnt vmcnt(0)
	global_atomic_cmpswap_x2 v[10:11], v27, v[8:11], s[34:35] offset:24 glc
	s_waitcnt vmcnt(0)
	v_cmp_ne_u64_e32 vcc, v[10:11], v[12:13]
	s_and_b64 exec, exec, vcc
	s_cbranch_execz .LBB2_164
; %bb.244:                              ;   in Loop: Header=BB2_165 Depth=1
	s_mov_b64 s[4:5], 0
.LBB2_245:                              ;   Parent Loop BB2_165 Depth=1
                                        ; =>  This Inner Loop Header: Depth=2
	s_sleep 1
	global_store_dwordx2 v[2:3], v[10:11], off
	buffer_wbl2
	s_waitcnt vmcnt(0)
	global_atomic_cmpswap_x2 v[12:13], v27, v[8:11], s[34:35] offset:24 glc
	s_waitcnt vmcnt(0)
	v_cmp_eq_u64_e32 vcc, v[12:13], v[10:11]
	s_or_b64 s[4:5], vcc, s[4:5]
	v_pk_mov_b32 v[10:11], v[12:13], v[12:13] op_sel:[0,1]
	s_andn2_b64 exec, exec, s[4:5]
	s_cbranch_execnz .LBB2_245
	s_branch .LBB2_164
.LBB2_246:
.LBB2_247:
	s_load_dwordx4 s[28:31], s[26:27], 0x18
	s_mov_b32 s8, 0
	s_waitcnt lgkmcnt(0)
	s_cmp_lt_i32 s29, 0
	s_cbranch_scc0 .LBB2_275
	s_branch .LBB2_442
.LBB2_248:
	s_cbranch_execz .LBB2_247
; %bb.249:
	v_readfirstlane_b32 s4, v43
	v_cmp_eq_u32_e64 s[4:5], s4, v43
	s_waitcnt vmcnt(0)
	v_pk_mov_b32 v[8:9], 0, 0
	s_and_saveexec_b64 s[6:7], s[4:5]
	s_cbranch_execz .LBB2_255
; %bb.250:
	v_mov_b32_e32 v2, 0
	global_load_dwordx2 v[6:7], v2, s[34:35] offset:24 glc
	s_waitcnt vmcnt(0)
	buffer_invl2
	buffer_wbinvl1_vol
	global_load_dwordx2 v[4:5], v2, s[34:35] offset:40
	global_load_dwordx2 v[8:9], v2, s[34:35]
	s_waitcnt vmcnt(1)
	v_and_b32_e32 v3, v4, v6
	v_and_b32_e32 v4, v5, v7
	v_mul_lo_u32 v4, v4, 24
	v_mul_hi_u32 v5, v3, 24
	v_mul_lo_u32 v3, v3, 24
	v_add_u32_e32 v5, v5, v4
	s_waitcnt vmcnt(0)
	v_add_co_u32_e32 v4, vcc, v8, v3
	v_addc_co_u32_e32 v5, vcc, v9, v5, vcc
	global_load_dwordx2 v[4:5], v[4:5], off glc
	s_waitcnt vmcnt(0)
	global_atomic_cmpswap_x2 v[8:9], v2, v[4:7], s[34:35] offset:24 glc
	s_waitcnt vmcnt(0)
	buffer_invl2
	buffer_wbinvl1_vol
	v_cmp_ne_u64_e32 vcc, v[8:9], v[6:7]
	s_and_saveexec_b64 s[8:9], vcc
	s_cbranch_execz .LBB2_254
; %bb.251:
	s_mov_b64 s[10:11], 0
.LBB2_252:                              ; =>This Inner Loop Header: Depth=1
	s_sleep 1
	global_load_dwordx2 v[4:5], v2, s[34:35] offset:40
	global_load_dwordx2 v[10:11], v2, s[34:35]
	v_pk_mov_b32 v[6:7], v[8:9], v[8:9] op_sel:[0,1]
	s_waitcnt vmcnt(1)
	v_and_b32_e32 v4, v4, v6
	v_and_b32_e32 v3, v5, v7
	s_waitcnt vmcnt(0)
	v_mad_u64_u32 v[4:5], s[12:13], v4, 24, v[10:11]
	v_mov_b32_e32 v8, v5
	v_mad_u64_u32 v[8:9], s[12:13], v3, 24, v[8:9]
	v_mov_b32_e32 v5, v8
	global_load_dwordx2 v[4:5], v[4:5], off glc
	s_waitcnt vmcnt(0)
	global_atomic_cmpswap_x2 v[8:9], v2, v[4:7], s[34:35] offset:24 glc
	s_waitcnt vmcnt(0)
	buffer_invl2
	buffer_wbinvl1_vol
	v_cmp_eq_u64_e32 vcc, v[8:9], v[6:7]
	s_or_b64 s[10:11], vcc, s[10:11]
	s_andn2_b64 exec, exec, s[10:11]
	s_cbranch_execnz .LBB2_252
; %bb.253:
	s_or_b64 exec, exec, s[10:11]
.LBB2_254:
	s_or_b64 exec, exec, s[8:9]
.LBB2_255:
	s_or_b64 exec, exec, s[6:7]
	v_mov_b32_e32 v2, 0
	global_load_dwordx2 v[10:11], v2, s[34:35] offset:40
	global_load_dwordx4 v[4:7], v2, s[34:35]
	v_readfirstlane_b32 s6, v8
	v_readfirstlane_b32 s7, v9
	s_mov_b64 s[8:9], exec
	s_waitcnt vmcnt(1)
	v_readfirstlane_b32 s10, v10
	v_readfirstlane_b32 s11, v11
	s_and_b64 s[10:11], s[6:7], s[10:11]
	s_mul_i32 s12, s11, 24
	s_mul_hi_u32 s13, s10, 24
	s_mul_i32 s14, s10, 24
	s_add_i32 s12, s13, s12
	v_mov_b32_e32 v3, s12
	s_waitcnt vmcnt(0)
	v_add_co_u32_e32 v8, vcc, s14, v4
	v_addc_co_u32_e32 v9, vcc, v5, v3, vcc
	s_and_saveexec_b64 s[12:13], s[4:5]
	s_cbranch_execz .LBB2_257
; %bb.256:
	v_pk_mov_b32 v[10:11], s[8:9], s[8:9] op_sel:[0,1]
	v_mov_b32_e32 v12, 2
	v_mov_b32_e32 v13, 1
	global_store_dwordx4 v[8:9], v[10:13], off offset:8
.LBB2_257:
	s_or_b64 exec, exec, s[12:13]
	s_lshl_b64 s[8:9], s[10:11], 12
	v_mov_b32_e32 v3, s9
	v_add_co_u32_e32 v6, vcc, s8, v6
	s_movk_i32 s8, 0xff1d
	v_addc_co_u32_e32 v7, vcc, v7, v3, vcc
	v_and_or_b32 v0, v0, s8, 34
	s_mov_b32 s8, 0
	v_mov_b32_e32 v3, v2
	v_readfirstlane_b32 s12, v6
	v_readfirstlane_b32 s13, v7
	s_mov_b32 s9, s8
	s_mov_b32 s10, s8
	;; [unrolled: 1-line block ×3, first 2 shown]
	s_nop 1
	global_store_dwordx4 v42, v[0:3], s[12:13]
	s_nop 0
	v_pk_mov_b32 v[0:1], s[8:9], s[8:9] op_sel:[0,1]
	v_pk_mov_b32 v[2:3], s[10:11], s[10:11] op_sel:[0,1]
	global_store_dwordx4 v42, v[0:3], s[12:13] offset:16
	global_store_dwordx4 v42, v[0:3], s[12:13] offset:32
	;; [unrolled: 1-line block ×3, first 2 shown]
	s_and_saveexec_b64 s[8:9], s[4:5]
	s_cbranch_execz .LBB2_265
; %bb.258:
	v_mov_b32_e32 v6, 0
	global_load_dwordx2 v[12:13], v6, s[34:35] offset:32 glc
	global_load_dwordx2 v[0:1], v6, s[34:35] offset:40
	v_mov_b32_e32 v10, s6
	v_mov_b32_e32 v11, s7
	s_waitcnt vmcnt(0)
	v_readfirstlane_b32 s10, v0
	v_readfirstlane_b32 s11, v1
	s_and_b64 s[10:11], s[10:11], s[6:7]
	s_mul_i32 s11, s11, 24
	s_mul_hi_u32 s12, s10, 24
	s_mul_i32 s10, s10, 24
	s_add_i32 s11, s12, s11
	v_mov_b32_e32 v0, s11
	v_add_co_u32_e32 v4, vcc, s10, v4
	v_addc_co_u32_e32 v5, vcc, v5, v0, vcc
	global_store_dwordx2 v[4:5], v[12:13], off
	buffer_wbl2
	s_waitcnt vmcnt(0)
	global_atomic_cmpswap_x2 v[2:3], v6, v[10:13], s[34:35] offset:32 glc
	s_waitcnt vmcnt(0)
	v_cmp_ne_u64_e32 vcc, v[2:3], v[12:13]
	s_and_saveexec_b64 s[10:11], vcc
	s_cbranch_execz .LBB2_261
; %bb.259:
	s_mov_b64 s[12:13], 0
.LBB2_260:                              ; =>This Inner Loop Header: Depth=1
	s_sleep 1
	global_store_dwordx2 v[4:5], v[2:3], off
	v_mov_b32_e32 v0, s6
	v_mov_b32_e32 v1, s7
	buffer_wbl2
	s_waitcnt vmcnt(0)
	global_atomic_cmpswap_x2 v[0:1], v6, v[0:3], s[34:35] offset:32 glc
	s_waitcnt vmcnt(0)
	v_cmp_eq_u64_e32 vcc, v[0:1], v[2:3]
	s_or_b64 s[12:13], vcc, s[12:13]
	v_pk_mov_b32 v[2:3], v[0:1], v[0:1] op_sel:[0,1]
	s_andn2_b64 exec, exec, s[12:13]
	s_cbranch_execnz .LBB2_260
.LBB2_261:
	s_or_b64 exec, exec, s[10:11]
	v_mov_b32_e32 v3, 0
	global_load_dwordx2 v[0:1], v3, s[34:35] offset:16
	s_mov_b64 s[10:11], exec
	v_mbcnt_lo_u32_b32 v2, s10, 0
	v_mbcnt_hi_u32_b32 v2, s11, v2
	v_cmp_eq_u32_e32 vcc, 0, v2
	s_and_saveexec_b64 s[12:13], vcc
	s_cbranch_execz .LBB2_263
; %bb.262:
	s_bcnt1_i32_b64 s10, s[10:11]
	v_mov_b32_e32 v2, s10
	buffer_wbl2
	s_waitcnt vmcnt(0)
	global_atomic_add_x2 v[0:1], v[2:3], off offset:8
.LBB2_263:
	s_or_b64 exec, exec, s[12:13]
	s_waitcnt vmcnt(0)
	global_load_dwordx2 v[2:3], v[0:1], off offset:16
	s_waitcnt vmcnt(0)
	v_cmp_eq_u64_e32 vcc, 0, v[2:3]
	s_cbranch_vccnz .LBB2_265
; %bb.264:
	global_load_dword v0, v[0:1], off offset:24
	v_mov_b32_e32 v1, 0
	buffer_wbl2
	s_waitcnt vmcnt(0)
	global_store_dwordx2 v[2:3], v[0:1], off
	v_and_b32_e32 v0, 0xffffff, v0
	v_readfirstlane_b32 m0, v0
	s_sendmsg sendmsg(MSG_INTERRUPT)
.LBB2_265:
	s_or_b64 exec, exec, s[8:9]
	s_branch .LBB2_269
.LBB2_266:                              ;   in Loop: Header=BB2_269 Depth=1
	s_or_b64 exec, exec, s[8:9]
	v_readfirstlane_b32 s8, v0
	s_cmp_eq_u32 s8, 0
	s_cbranch_scc1 .LBB2_268
; %bb.267:                              ;   in Loop: Header=BB2_269 Depth=1
	s_sleep 1
	s_cbranch_execnz .LBB2_269
	s_branch .LBB2_271
.LBB2_268:
	s_branch .LBB2_271
.LBB2_269:                              ; =>This Inner Loop Header: Depth=1
	v_mov_b32_e32 v0, 1
	s_and_saveexec_b64 s[8:9], s[4:5]
	s_cbranch_execz .LBB2_266
; %bb.270:                              ;   in Loop: Header=BB2_269 Depth=1
	global_load_dword v0, v[8:9], off offset:20 glc
	s_waitcnt vmcnt(0)
	buffer_invl2
	buffer_wbinvl1_vol
	v_and_b32_e32 v0, 1, v0
	s_branch .LBB2_266
.LBB2_271:
	s_and_saveexec_b64 s[8:9], s[4:5]
	s_cbranch_execz .LBB2_274
; %bb.272:
	v_mov_b32_e32 v6, 0
	global_load_dwordx2 v[4:5], v6, s[34:35] offset:40
	global_load_dwordx2 v[8:9], v6, s[34:35] offset:24 glc
	global_load_dwordx2 v[10:11], v6, s[34:35]
	v_mov_b32_e32 v1, s7
	s_mov_b64 s[4:5], 0
	s_waitcnt vmcnt(2)
	v_add_co_u32_e32 v3, vcc, 1, v4
	v_addc_co_u32_e32 v7, vcc, 0, v5, vcc
	v_add_co_u32_e32 v0, vcc, s6, v3
	v_addc_co_u32_e32 v1, vcc, v7, v1, vcc
	v_cmp_eq_u64_e32 vcc, 0, v[0:1]
	v_cndmask_b32_e32 v1, v1, v7, vcc
	v_cndmask_b32_e32 v0, v0, v3, vcc
	v_and_b32_e32 v3, v1, v5
	v_and_b32_e32 v4, v0, v4
	v_mul_lo_u32 v3, v3, 24
	v_mul_hi_u32 v5, v4, 24
	v_mul_lo_u32 v4, v4, 24
	v_add_u32_e32 v3, v5, v3
	s_waitcnt vmcnt(0)
	v_add_co_u32_e32 v4, vcc, v10, v4
	v_addc_co_u32_e32 v5, vcc, v11, v3, vcc
	v_mov_b32_e32 v2, v8
	global_store_dwordx2 v[4:5], v[8:9], off
	v_mov_b32_e32 v3, v9
	buffer_wbl2
	s_waitcnt vmcnt(0)
	global_atomic_cmpswap_x2 v[2:3], v6, v[0:3], s[34:35] offset:24 glc
	s_waitcnt vmcnt(0)
	v_cmp_ne_u64_e32 vcc, v[2:3], v[8:9]
	s_and_b64 exec, exec, vcc
	s_cbranch_execz .LBB2_274
.LBB2_273:                              ; =>This Inner Loop Header: Depth=1
	s_sleep 1
	global_store_dwordx2 v[4:5], v[2:3], off
	buffer_wbl2
	s_waitcnt vmcnt(0)
	global_atomic_cmpswap_x2 v[8:9], v6, v[0:3], s[34:35] offset:24 glc
	s_waitcnt vmcnt(0)
	v_cmp_eq_u64_e32 vcc, v[8:9], v[2:3]
	s_or_b64 s[4:5], vcc, s[4:5]
	v_pk_mov_b32 v[2:3], v[8:9], v[8:9] op_sel:[0,1]
	s_andn2_b64 exec, exec, s[4:5]
	s_cbranch_execnz .LBB2_273
.LBB2_274:
	s_or_b64 exec, exec, s[8:9]
	s_load_dwordx4 s[28:31], s[26:27], 0x18
	s_mov_b32 s8, 0
	s_waitcnt lgkmcnt(0)
	s_cmp_lt_i32 s29, 0
	s_cbranch_scc1 .LBB2_442
.LBB2_275:
	s_getpc_b64 s[4:5]
	s_add_u32 s4, s4, .str.7@rel32@lo+4
	s_addc_u32 s5, s5, .str.7@rel32@hi+12
	s_mov_b32 s10, s8
	s_mov_b32 s11, s8
	s_cmp_lg_u64 s[4:5], 0
	v_mov_b32_e32 v3, 0
	s_mov_b32 s9, s8
	v_pk_mov_b32 v[14:15], s[10:11], s[10:11] op_sel:[0,1]
	s_cselect_b64 s[6:7], -1, 0
	v_mov_b32_e32 v4, 33
	s_movk_i32 s31, 0xff1f
	s_movk_i32 s33, 0xff1d
	v_mov_b32_e32 v10, 2
	v_mov_b32_e32 v11, 1
	;; [unrolled: 1-line block ×3, first 2 shown]
	s_waitcnt vmcnt(0)
	v_mov_b32_e32 v6, v3
	v_mov_b32_e32 v7, v3
	v_pk_mov_b32 v[12:13], s[8:9], s[8:9] op_sel:[0,1]
	s_mov_b32 s36, s8
	s_branch .LBB2_277
.LBB2_276:                              ;   in Loop: Header=BB2_277 Depth=1
	s_or_b64 exec, exec, s[14:15]
	s_add_i32 s4, s36, 1
	s_cmp_eq_u32 s36, s29
	s_mov_b32 s36, s4
	s_cbranch_scc1 .LBB2_442
.LBB2_277:                              ; =>This Loop Header: Depth=1
                                        ;     Child Loop BB2_280 Depth 2
                                        ;     Child Loop BB2_288 Depth 2
	;; [unrolled: 1-line block ×9, first 2 shown]
                                        ;       Child Loop BB2_309 Depth 3
                                        ;       Child Loop BB2_316 Depth 3
	;; [unrolled: 1-line block ×11, first 2 shown]
                                        ;     Child Loop BB2_419 Depth 2
                                        ;     Child Loop BB2_427 Depth 2
	;; [unrolled: 1-line block ×4, first 2 shown]
	v_readfirstlane_b32 s4, v43
	v_cmp_eq_u32_e64 s[4:5], s4, v43
	v_pk_mov_b32 v[0:1], 0, 0
	s_and_saveexec_b64 s[12:13], s[4:5]
	s_cbranch_execz .LBB2_283
; %bb.278:                              ;   in Loop: Header=BB2_277 Depth=1
	global_load_dwordx2 v[18:19], v3, s[34:35] offset:24 glc
	s_waitcnt vmcnt(0)
	buffer_invl2
	buffer_wbinvl1_vol
	global_load_dwordx2 v[0:1], v3, s[34:35] offset:40
	global_load_dwordx2 v[8:9], v3, s[34:35]
	s_waitcnt vmcnt(1)
	v_and_b32_e32 v0, v0, v18
	v_and_b32_e32 v1, v1, v19
	v_mul_lo_u32 v1, v1, 24
	v_mul_hi_u32 v2, v0, 24
	v_mul_lo_u32 v0, v0, 24
	v_add_u32_e32 v1, v2, v1
	s_waitcnt vmcnt(0)
	v_add_co_u32_e32 v0, vcc, v8, v0
	v_addc_co_u32_e32 v1, vcc, v9, v1, vcc
	global_load_dwordx2 v[16:17], v[0:1], off glc
	s_waitcnt vmcnt(0)
	global_atomic_cmpswap_x2 v[0:1], v3, v[16:19], s[34:35] offset:24 glc
	s_waitcnt vmcnt(0)
	buffer_invl2
	buffer_wbinvl1_vol
	v_cmp_ne_u64_e32 vcc, v[0:1], v[18:19]
	s_and_saveexec_b64 s[14:15], vcc
	s_cbranch_execz .LBB2_282
; %bb.279:                              ;   in Loop: Header=BB2_277 Depth=1
	s_mov_b64 s[16:17], 0
.LBB2_280:                              ;   Parent Loop BB2_277 Depth=1
                                        ; =>  This Inner Loop Header: Depth=2
	s_sleep 1
	global_load_dwordx2 v[8:9], v3, s[34:35] offset:40
	global_load_dwordx2 v[16:17], v3, s[34:35]
	v_pk_mov_b32 v[18:19], v[0:1], v[0:1] op_sel:[0,1]
	s_waitcnt vmcnt(1)
	v_and_b32_e32 v0, v8, v18
	s_waitcnt vmcnt(0)
	v_mad_u64_u32 v[0:1], s[18:19], v0, 24, v[16:17]
	v_and_b32_e32 v9, v9, v19
	v_mov_b32_e32 v2, v1
	v_mad_u64_u32 v[8:9], s[18:19], v9, 24, v[2:3]
	v_mov_b32_e32 v1, v8
	global_load_dwordx2 v[16:17], v[0:1], off glc
	s_waitcnt vmcnt(0)
	global_atomic_cmpswap_x2 v[0:1], v3, v[16:19], s[34:35] offset:24 glc
	s_waitcnt vmcnt(0)
	buffer_invl2
	buffer_wbinvl1_vol
	v_cmp_eq_u64_e32 vcc, v[0:1], v[18:19]
	s_or_b64 s[16:17], vcc, s[16:17]
	s_andn2_b64 exec, exec, s[16:17]
	s_cbranch_execnz .LBB2_280
; %bb.281:                              ;   in Loop: Header=BB2_277 Depth=1
	s_or_b64 exec, exec, s[16:17]
.LBB2_282:                              ;   in Loop: Header=BB2_277 Depth=1
	s_or_b64 exec, exec, s[14:15]
.LBB2_283:                              ;   in Loop: Header=BB2_277 Depth=1
	s_or_b64 exec, exec, s[12:13]
	global_load_dwordx2 v[8:9], v3, s[34:35] offset:40
	global_load_dwordx4 v[16:19], v3, s[34:35]
	v_readfirstlane_b32 s12, v0
	v_readfirstlane_b32 s13, v1
	s_mov_b64 s[14:15], exec
	s_waitcnt vmcnt(1)
	v_readfirstlane_b32 s16, v8
	v_readfirstlane_b32 s17, v9
	s_and_b64 s[16:17], s[12:13], s[16:17]
	s_mul_i32 s18, s17, 24
	s_mul_hi_u32 s19, s16, 24
	s_mul_i32 s20, s16, 24
	s_add_i32 s18, s19, s18
	v_mov_b32_e32 v1, s18
	s_waitcnt vmcnt(0)
	v_add_co_u32_e32 v0, vcc, s20, v16
	v_addc_co_u32_e32 v1, vcc, v17, v1, vcc
	s_and_saveexec_b64 s[18:19], s[4:5]
	s_cbranch_execz .LBB2_285
; %bb.284:                              ;   in Loop: Header=BB2_277 Depth=1
	v_pk_mov_b32 v[8:9], s[14:15], s[14:15] op_sel:[0,1]
	global_store_dwordx4 v[0:1], v[8:11], off offset:8
.LBB2_285:                              ;   in Loop: Header=BB2_277 Depth=1
	s_or_b64 exec, exec, s[18:19]
	s_lshl_b64 s[14:15], s[16:17], 12
	v_mov_b32_e32 v2, s15
	v_add_co_u32_e32 v8, vcc, s14, v18
	v_addc_co_u32_e32 v9, vcc, v19, v2, vcc
	v_readfirstlane_b32 s14, v8
	v_readfirstlane_b32 s15, v9
	s_nop 4
	global_store_dwordx4 v42, v[4:7], s[14:15]
	global_store_dwordx4 v42, v[12:15], s[14:15] offset:16
	global_store_dwordx4 v42, v[12:15], s[14:15] offset:32
	;; [unrolled: 1-line block ×3, first 2 shown]
	s_and_saveexec_b64 s[14:15], s[4:5]
	s_cbranch_execz .LBB2_293
; %bb.286:                              ;   in Loop: Header=BB2_277 Depth=1
	global_load_dwordx2 v[24:25], v3, s[34:35] offset:32 glc
	global_load_dwordx2 v[18:19], v3, s[34:35] offset:40
	v_mov_b32_e32 v22, s12
	v_mov_b32_e32 v23, s13
	s_waitcnt vmcnt(0)
	v_readfirstlane_b32 s16, v18
	v_readfirstlane_b32 s17, v19
	s_and_b64 s[16:17], s[16:17], s[12:13]
	s_mul_i32 s17, s17, 24
	s_mul_hi_u32 s18, s16, 24
	s_mul_i32 s16, s16, 24
	s_add_i32 s17, s18, s17
	v_mov_b32_e32 v2, s17
	v_add_co_u32_e32 v20, vcc, s16, v16
	v_addc_co_u32_e32 v21, vcc, v17, v2, vcc
	global_store_dwordx2 v[20:21], v[24:25], off
	buffer_wbl2
	s_waitcnt vmcnt(0)
	global_atomic_cmpswap_x2 v[18:19], v3, v[22:25], s[34:35] offset:32 glc
	s_waitcnt vmcnt(0)
	v_cmp_ne_u64_e32 vcc, v[18:19], v[24:25]
	s_and_saveexec_b64 s[16:17], vcc
	s_cbranch_execz .LBB2_289
; %bb.287:                              ;   in Loop: Header=BB2_277 Depth=1
	s_mov_b64 s[18:19], 0
.LBB2_288:                              ;   Parent Loop BB2_277 Depth=1
                                        ; =>  This Inner Loop Header: Depth=2
	s_sleep 1
	global_store_dwordx2 v[20:21], v[18:19], off
	v_mov_b32_e32 v16, s12
	v_mov_b32_e32 v17, s13
	buffer_wbl2
	s_waitcnt vmcnt(0)
	global_atomic_cmpswap_x2 v[16:17], v3, v[16:19], s[34:35] offset:32 glc
	s_waitcnt vmcnt(0)
	v_cmp_eq_u64_e32 vcc, v[16:17], v[18:19]
	s_or_b64 s[18:19], vcc, s[18:19]
	v_pk_mov_b32 v[18:19], v[16:17], v[16:17] op_sel:[0,1]
	s_andn2_b64 exec, exec, s[18:19]
	s_cbranch_execnz .LBB2_288
.LBB2_289:                              ;   in Loop: Header=BB2_277 Depth=1
	s_or_b64 exec, exec, s[16:17]
	global_load_dwordx2 v[16:17], v3, s[34:35] offset:16
	s_mov_b64 s[18:19], exec
	v_mbcnt_lo_u32_b32 v2, s18, 0
	v_mbcnt_hi_u32_b32 v2, s19, v2
	v_cmp_eq_u32_e32 vcc, 0, v2
	s_and_saveexec_b64 s[16:17], vcc
	s_cbranch_execz .LBB2_291
; %bb.290:                              ;   in Loop: Header=BB2_277 Depth=1
	s_bcnt1_i32_b64 s18, s[18:19]
	v_mov_b32_e32 v2, s18
	buffer_wbl2
	s_waitcnt vmcnt(0)
	global_atomic_add_x2 v[16:17], v[2:3], off offset:8
.LBB2_291:                              ;   in Loop: Header=BB2_277 Depth=1
	s_or_b64 exec, exec, s[16:17]
	s_waitcnt vmcnt(0)
	global_load_dwordx2 v[18:19], v[16:17], off offset:16
	s_waitcnt vmcnt(0)
	v_cmp_eq_u64_e32 vcc, 0, v[18:19]
	s_cbranch_vccnz .LBB2_293
; %bb.292:                              ;   in Loop: Header=BB2_277 Depth=1
	global_load_dword v2, v[16:17], off offset:24
	buffer_wbl2
	s_waitcnt vmcnt(0)
	global_store_dwordx2 v[18:19], v[2:3], off
	v_and_b32_e32 v2, 0xffffff, v2
	v_readfirstlane_b32 m0, v2
	s_sendmsg sendmsg(MSG_INTERRUPT)
.LBB2_293:                              ;   in Loop: Header=BB2_277 Depth=1
	s_or_b64 exec, exec, s[14:15]
	v_add_co_u32_e32 v8, vcc, v8, v42
	v_addc_co_u32_e32 v9, vcc, 0, v9, vcc
	s_branch .LBB2_297
.LBB2_294:                              ;   in Loop: Header=BB2_297 Depth=2
	s_or_b64 exec, exec, s[14:15]
	v_readfirstlane_b32 s14, v2
	s_cmp_eq_u32 s14, 0
	s_cbranch_scc1 .LBB2_296
; %bb.295:                              ;   in Loop: Header=BB2_297 Depth=2
	s_sleep 1
	s_cbranch_execnz .LBB2_297
	s_branch .LBB2_299
.LBB2_296:                              ;   in Loop: Header=BB2_277 Depth=1
	s_branch .LBB2_299
.LBB2_297:                              ;   Parent Loop BB2_277 Depth=1
                                        ; =>  This Inner Loop Header: Depth=2
	v_mov_b32_e32 v2, 1
	s_and_saveexec_b64 s[14:15], s[4:5]
	s_cbranch_execz .LBB2_294
; %bb.298:                              ;   in Loop: Header=BB2_297 Depth=2
	global_load_dword v2, v[0:1], off offset:20 glc
	s_waitcnt vmcnt(0)
	buffer_invl2
	buffer_wbinvl1_vol
	v_and_b32_e32 v2, 1, v2
	s_branch .LBB2_294
.LBB2_299:                              ;   in Loop: Header=BB2_277 Depth=1
	global_load_dwordx2 v[0:1], v[8:9], off
	s_and_saveexec_b64 s[14:15], s[4:5]
	s_cbranch_execz .LBB2_303
; %bb.300:                              ;   in Loop: Header=BB2_277 Depth=1
	global_load_dwordx2 v[8:9], v3, s[34:35] offset:40
	global_load_dwordx2 v[20:21], v3, s[34:35] offset:24 glc
	global_load_dwordx2 v[22:23], v3, s[34:35]
	v_mov_b32_e32 v2, s13
	s_waitcnt vmcnt(2)
	v_add_co_u32_e32 v19, vcc, 1, v8
	v_addc_co_u32_e32 v24, vcc, 0, v9, vcc
	v_add_co_u32_e32 v16, vcc, s12, v19
	v_addc_co_u32_e32 v17, vcc, v24, v2, vcc
	v_cmp_eq_u64_e32 vcc, 0, v[16:17]
	v_cndmask_b32_e32 v17, v17, v24, vcc
	v_cndmask_b32_e32 v16, v16, v19, vcc
	v_and_b32_e32 v2, v17, v9
	v_and_b32_e32 v8, v16, v8
	v_mul_lo_u32 v2, v2, 24
	v_mul_hi_u32 v9, v8, 24
	v_mul_lo_u32 v8, v8, 24
	v_add_u32_e32 v2, v9, v2
	s_waitcnt vmcnt(0)
	v_add_co_u32_e32 v8, vcc, v22, v8
	v_addc_co_u32_e32 v9, vcc, v23, v2, vcc
	v_mov_b32_e32 v18, v20
	global_store_dwordx2 v[8:9], v[20:21], off
	v_mov_b32_e32 v19, v21
	buffer_wbl2
	s_waitcnt vmcnt(0)
	global_atomic_cmpswap_x2 v[18:19], v3, v[16:19], s[34:35] offset:24 glc
	s_waitcnt vmcnt(0)
	v_cmp_ne_u64_e32 vcc, v[18:19], v[20:21]
	s_and_b64 exec, exec, vcc
	s_cbranch_execz .LBB2_303
; %bb.301:                              ;   in Loop: Header=BB2_277 Depth=1
	s_mov_b64 s[4:5], 0
.LBB2_302:                              ;   Parent Loop BB2_277 Depth=1
                                        ; =>  This Inner Loop Header: Depth=2
	s_sleep 1
	global_store_dwordx2 v[8:9], v[18:19], off
	buffer_wbl2
	s_waitcnt vmcnt(0)
	global_atomic_cmpswap_x2 v[20:21], v3, v[16:19], s[34:35] offset:24 glc
	s_waitcnt vmcnt(0)
	v_cmp_eq_u64_e32 vcc, v[20:21], v[18:19]
	s_or_b64 s[4:5], vcc, s[4:5]
	v_pk_mov_b32 v[18:19], v[20:21], v[20:21] op_sel:[0,1]
	s_andn2_b64 exec, exec, s[4:5]
	s_cbranch_execnz .LBB2_302
.LBB2_303:                              ;   in Loop: Header=BB2_277 Depth=1
	s_or_b64 exec, exec, s[14:15]
	s_and_b64 vcc, exec, s[6:7]
	s_cbranch_vccz .LBB2_388
; %bb.304:                              ;   in Loop: Header=BB2_277 Depth=1
	s_waitcnt vmcnt(0)
	v_and_b32_e32 v36, 2, v0
	v_and_b32_e32 v16, -3, v0
	v_mov_b32_e32 v17, v1
	s_mov_b64 s[14:15], 4
	s_getpc_b64 s[12:13]
	s_add_u32 s12, s12, .str.7@rel32@lo+4
	s_addc_u32 s13, s13, .str.7@rel32@hi+12
	s_branch .LBB2_306
.LBB2_305:                              ;   in Loop: Header=BB2_306 Depth=2
	s_or_b64 exec, exec, s[20:21]
	s_sub_u32 s14, s14, s16
	s_subb_u32 s15, s15, s17
	s_add_u32 s12, s12, s16
	s_addc_u32 s13, s13, s17
	s_cmp_lg_u64 s[14:15], 0
	s_cbranch_scc0 .LBB2_387
.LBB2_306:                              ;   Parent Loop BB2_277 Depth=1
                                        ; =>  This Loop Header: Depth=2
                                        ;       Child Loop BB2_309 Depth 3
                                        ;       Child Loop BB2_316 Depth 3
                                        ;       Child Loop BB2_324 Depth 3
                                        ;       Child Loop BB2_332 Depth 3
                                        ;       Child Loop BB2_340 Depth 3
                                        ;       Child Loop BB2_348 Depth 3
                                        ;       Child Loop BB2_356 Depth 3
                                        ;       Child Loop BB2_364 Depth 3
                                        ;       Child Loop BB2_372 Depth 3
                                        ;       Child Loop BB2_381 Depth 3
                                        ;       Child Loop BB2_386 Depth 3
	v_cmp_lt_u64_e64 s[4:5], s[14:15], 56
	s_and_b64 s[4:5], s[4:5], exec
	v_cmp_gt_u64_e64 s[4:5], s[14:15], 7
	s_cselect_b32 s17, s15, 0
	s_cselect_b32 s16, s14, 56
	s_and_b64 vcc, exec, s[4:5]
	s_cbranch_vccnz .LBB2_311
; %bb.307:                              ;   in Loop: Header=BB2_306 Depth=2
	s_mov_b64 s[4:5], 0
	s_cmp_eq_u64 s[14:15], 0
	s_waitcnt vmcnt(0)
	v_pk_mov_b32 v[18:19], 0, 0
	s_cbranch_scc1 .LBB2_310
; %bb.308:                              ;   in Loop: Header=BB2_306 Depth=2
	s_lshl_b64 s[18:19], s[16:17], 3
	s_mov_b64 s[20:21], 0
	v_pk_mov_b32 v[18:19], 0, 0
	s_mov_b64 s[22:23], s[12:13]
.LBB2_309:                              ;   Parent Loop BB2_277 Depth=1
                                        ;     Parent Loop BB2_306 Depth=2
                                        ; =>    This Inner Loop Header: Depth=3
	global_load_ubyte v2, v3, s[22:23]
	s_waitcnt vmcnt(0)
	v_and_b32_e32 v2, 0xffff, v2
	v_lshlrev_b64 v[8:9], s20, v[2:3]
	s_add_u32 s20, s20, 8
	s_addc_u32 s21, s21, 0
	s_add_u32 s22, s22, 1
	s_addc_u32 s23, s23, 0
	v_or_b32_e32 v18, v8, v18
	s_cmp_lg_u32 s18, s20
	v_or_b32_e32 v19, v9, v19
	s_cbranch_scc1 .LBB2_309
.LBB2_310:                              ;   in Loop: Header=BB2_306 Depth=2
	s_mov_b32 s22, 0
	s_andn2_b64 vcc, exec, s[4:5]
	s_mov_b64 s[4:5], s[12:13]
	s_cbranch_vccz .LBB2_312
	s_branch .LBB2_313
.LBB2_311:                              ;   in Loop: Header=BB2_306 Depth=2
                                        ; implicit-def: $vgpr18_vgpr19
                                        ; implicit-def: $sgpr22
	s_mov_b64 s[4:5], s[12:13]
.LBB2_312:                              ;   in Loop: Header=BB2_306 Depth=2
	global_load_dwordx2 v[18:19], v3, s[12:13]
	s_add_i32 s22, s16, -8
	s_add_u32 s4, s12, 8
	s_addc_u32 s5, s13, 0
.LBB2_313:                              ;   in Loop: Header=BB2_306 Depth=2
	s_cmp_gt_u32 s22, 7
	s_cbranch_scc1 .LBB2_317
; %bb.314:                              ;   in Loop: Header=BB2_306 Depth=2
	s_cmp_eq_u32 s22, 0
	s_cbranch_scc1 .LBB2_318
; %bb.315:                              ;   in Loop: Header=BB2_306 Depth=2
	s_mov_b64 s[18:19], 0
	v_pk_mov_b32 v[20:21], 0, 0
	s_mov_b64 s[20:21], 0
.LBB2_316:                              ;   Parent Loop BB2_277 Depth=1
                                        ;     Parent Loop BB2_306 Depth=2
                                        ; =>    This Inner Loop Header: Depth=3
	s_add_u32 s24, s4, s20
	s_addc_u32 s25, s5, s21
	global_load_ubyte v2, v3, s[24:25]
	s_add_u32 s20, s20, 1
	s_addc_u32 s21, s21, 0
	s_waitcnt vmcnt(0)
	v_and_b32_e32 v2, 0xffff, v2
	v_lshlrev_b64 v[8:9], s18, v[2:3]
	s_add_u32 s18, s18, 8
	s_addc_u32 s19, s19, 0
	v_or_b32_e32 v20, v8, v20
	s_cmp_lg_u32 s22, s20
	v_or_b32_e32 v21, v9, v21
	s_cbranch_scc1 .LBB2_316
	s_branch .LBB2_319
.LBB2_317:                              ;   in Loop: Header=BB2_306 Depth=2
                                        ; implicit-def: $vgpr20_vgpr21
                                        ; implicit-def: $sgpr23
	s_branch .LBB2_320
.LBB2_318:                              ;   in Loop: Header=BB2_306 Depth=2
	v_pk_mov_b32 v[20:21], 0, 0
.LBB2_319:                              ;   in Loop: Header=BB2_306 Depth=2
	s_mov_b32 s23, 0
	s_cbranch_execnz .LBB2_321
.LBB2_320:                              ;   in Loop: Header=BB2_306 Depth=2
	global_load_dwordx2 v[20:21], v3, s[4:5]
	s_add_i32 s23, s22, -8
	s_add_u32 s4, s4, 8
	s_addc_u32 s5, s5, 0
.LBB2_321:                              ;   in Loop: Header=BB2_306 Depth=2
	s_cmp_gt_u32 s23, 7
	s_cbranch_scc1 .LBB2_325
; %bb.322:                              ;   in Loop: Header=BB2_306 Depth=2
	s_cmp_eq_u32 s23, 0
	s_cbranch_scc1 .LBB2_326
; %bb.323:                              ;   in Loop: Header=BB2_306 Depth=2
	s_mov_b64 s[18:19], 0
	v_pk_mov_b32 v[22:23], 0, 0
	s_mov_b64 s[20:21], 0
.LBB2_324:                              ;   Parent Loop BB2_277 Depth=1
                                        ;     Parent Loop BB2_306 Depth=2
                                        ; =>    This Inner Loop Header: Depth=3
	s_add_u32 s24, s4, s20
	s_addc_u32 s25, s5, s21
	global_load_ubyte v2, v3, s[24:25]
	s_add_u32 s20, s20, 1
	s_addc_u32 s21, s21, 0
	s_waitcnt vmcnt(0)
	v_and_b32_e32 v2, 0xffff, v2
	v_lshlrev_b64 v[8:9], s18, v[2:3]
	s_add_u32 s18, s18, 8
	s_addc_u32 s19, s19, 0
	v_or_b32_e32 v22, v8, v22
	s_cmp_lg_u32 s23, s20
	v_or_b32_e32 v23, v9, v23
	s_cbranch_scc1 .LBB2_324
	s_branch .LBB2_327
.LBB2_325:                              ;   in Loop: Header=BB2_306 Depth=2
                                        ; implicit-def: $sgpr22
	s_branch .LBB2_328
.LBB2_326:                              ;   in Loop: Header=BB2_306 Depth=2
	v_pk_mov_b32 v[22:23], 0, 0
.LBB2_327:                              ;   in Loop: Header=BB2_306 Depth=2
	s_mov_b32 s22, 0
	s_cbranch_execnz .LBB2_329
.LBB2_328:                              ;   in Loop: Header=BB2_306 Depth=2
	global_load_dwordx2 v[22:23], v3, s[4:5]
	s_add_i32 s22, s23, -8
	s_add_u32 s4, s4, 8
	s_addc_u32 s5, s5, 0
.LBB2_329:                              ;   in Loop: Header=BB2_306 Depth=2
	s_cmp_gt_u32 s22, 7
	s_cbranch_scc1 .LBB2_333
; %bb.330:                              ;   in Loop: Header=BB2_306 Depth=2
	s_cmp_eq_u32 s22, 0
	s_cbranch_scc1 .LBB2_334
; %bb.331:                              ;   in Loop: Header=BB2_306 Depth=2
	s_mov_b64 s[18:19], 0
	v_pk_mov_b32 v[24:25], 0, 0
	s_mov_b64 s[20:21], 0
.LBB2_332:                              ;   Parent Loop BB2_277 Depth=1
                                        ;     Parent Loop BB2_306 Depth=2
                                        ; =>    This Inner Loop Header: Depth=3
	s_add_u32 s24, s4, s20
	s_addc_u32 s25, s5, s21
	global_load_ubyte v2, v3, s[24:25]
	s_add_u32 s20, s20, 1
	s_addc_u32 s21, s21, 0
	s_waitcnt vmcnt(0)
	v_and_b32_e32 v2, 0xffff, v2
	v_lshlrev_b64 v[8:9], s18, v[2:3]
	s_add_u32 s18, s18, 8
	s_addc_u32 s19, s19, 0
	v_or_b32_e32 v24, v8, v24
	s_cmp_lg_u32 s22, s20
	v_or_b32_e32 v25, v9, v25
	s_cbranch_scc1 .LBB2_332
	s_branch .LBB2_335
.LBB2_333:                              ;   in Loop: Header=BB2_306 Depth=2
                                        ; implicit-def: $vgpr24_vgpr25
                                        ; implicit-def: $sgpr23
	s_branch .LBB2_336
.LBB2_334:                              ;   in Loop: Header=BB2_306 Depth=2
	v_pk_mov_b32 v[24:25], 0, 0
.LBB2_335:                              ;   in Loop: Header=BB2_306 Depth=2
	s_mov_b32 s23, 0
	s_cbranch_execnz .LBB2_337
.LBB2_336:                              ;   in Loop: Header=BB2_306 Depth=2
	global_load_dwordx2 v[24:25], v3, s[4:5]
	s_add_i32 s23, s22, -8
	s_add_u32 s4, s4, 8
	s_addc_u32 s5, s5, 0
.LBB2_337:                              ;   in Loop: Header=BB2_306 Depth=2
	s_cmp_gt_u32 s23, 7
	s_cbranch_scc1 .LBB2_341
; %bb.338:                              ;   in Loop: Header=BB2_306 Depth=2
	s_cmp_eq_u32 s23, 0
	s_cbranch_scc1 .LBB2_342
; %bb.339:                              ;   in Loop: Header=BB2_306 Depth=2
	s_mov_b64 s[18:19], 0
	v_pk_mov_b32 v[26:27], 0, 0
	s_mov_b64 s[20:21], 0
.LBB2_340:                              ;   Parent Loop BB2_277 Depth=1
                                        ;     Parent Loop BB2_306 Depth=2
                                        ; =>    This Inner Loop Header: Depth=3
	s_add_u32 s24, s4, s20
	s_addc_u32 s25, s5, s21
	global_load_ubyte v2, v3, s[24:25]
	s_add_u32 s20, s20, 1
	s_addc_u32 s21, s21, 0
	s_waitcnt vmcnt(0)
	v_and_b32_e32 v2, 0xffff, v2
	v_lshlrev_b64 v[8:9], s18, v[2:3]
	s_add_u32 s18, s18, 8
	s_addc_u32 s19, s19, 0
	v_or_b32_e32 v26, v8, v26
	s_cmp_lg_u32 s23, s20
	v_or_b32_e32 v27, v9, v27
	s_cbranch_scc1 .LBB2_340
	s_branch .LBB2_343
.LBB2_341:                              ;   in Loop: Header=BB2_306 Depth=2
                                        ; implicit-def: $sgpr22
	s_branch .LBB2_344
.LBB2_342:                              ;   in Loop: Header=BB2_306 Depth=2
	v_pk_mov_b32 v[26:27], 0, 0
.LBB2_343:                              ;   in Loop: Header=BB2_306 Depth=2
	s_mov_b32 s22, 0
	s_cbranch_execnz .LBB2_345
.LBB2_344:                              ;   in Loop: Header=BB2_306 Depth=2
	global_load_dwordx2 v[26:27], v3, s[4:5]
	s_add_i32 s22, s23, -8
	s_add_u32 s4, s4, 8
	s_addc_u32 s5, s5, 0
.LBB2_345:                              ;   in Loop: Header=BB2_306 Depth=2
	s_cmp_gt_u32 s22, 7
	s_cbranch_scc1 .LBB2_349
; %bb.346:                              ;   in Loop: Header=BB2_306 Depth=2
	s_cmp_eq_u32 s22, 0
	s_cbranch_scc1 .LBB2_350
; %bb.347:                              ;   in Loop: Header=BB2_306 Depth=2
	s_mov_b64 s[18:19], 0
	v_pk_mov_b32 v[28:29], 0, 0
	s_mov_b64 s[20:21], 0
.LBB2_348:                              ;   Parent Loop BB2_277 Depth=1
                                        ;     Parent Loop BB2_306 Depth=2
                                        ; =>    This Inner Loop Header: Depth=3
	s_add_u32 s24, s4, s20
	s_addc_u32 s25, s5, s21
	global_load_ubyte v2, v3, s[24:25]
	s_add_u32 s20, s20, 1
	s_addc_u32 s21, s21, 0
	s_waitcnt vmcnt(0)
	v_and_b32_e32 v2, 0xffff, v2
	v_lshlrev_b64 v[8:9], s18, v[2:3]
	s_add_u32 s18, s18, 8
	s_addc_u32 s19, s19, 0
	v_or_b32_e32 v28, v8, v28
	s_cmp_lg_u32 s22, s20
	v_or_b32_e32 v29, v9, v29
	s_cbranch_scc1 .LBB2_348
	s_branch .LBB2_351
.LBB2_349:                              ;   in Loop: Header=BB2_306 Depth=2
                                        ; implicit-def: $vgpr28_vgpr29
                                        ; implicit-def: $sgpr23
	s_branch .LBB2_352
.LBB2_350:                              ;   in Loop: Header=BB2_306 Depth=2
	v_pk_mov_b32 v[28:29], 0, 0
.LBB2_351:                              ;   in Loop: Header=BB2_306 Depth=2
	s_mov_b32 s23, 0
	s_cbranch_execnz .LBB2_353
.LBB2_352:                              ;   in Loop: Header=BB2_306 Depth=2
	global_load_dwordx2 v[28:29], v3, s[4:5]
	s_add_i32 s23, s22, -8
	s_add_u32 s4, s4, 8
	s_addc_u32 s5, s5, 0
.LBB2_353:                              ;   in Loop: Header=BB2_306 Depth=2
	s_cmp_gt_u32 s23, 7
	s_cbranch_scc1 .LBB2_357
; %bb.354:                              ;   in Loop: Header=BB2_306 Depth=2
	s_cmp_eq_u32 s23, 0
	s_cbranch_scc1 .LBB2_358
; %bb.355:                              ;   in Loop: Header=BB2_306 Depth=2
	s_mov_b64 s[18:19], 0
	v_pk_mov_b32 v[30:31], 0, 0
	s_mov_b64 s[20:21], s[4:5]
.LBB2_356:                              ;   Parent Loop BB2_277 Depth=1
                                        ;     Parent Loop BB2_306 Depth=2
                                        ; =>    This Inner Loop Header: Depth=3
	global_load_ubyte v2, v3, s[20:21]
	s_add_i32 s23, s23, -1
	s_waitcnt vmcnt(0)
	v_and_b32_e32 v2, 0xffff, v2
	v_lshlrev_b64 v[8:9], s18, v[2:3]
	s_add_u32 s18, s18, 8
	s_addc_u32 s19, s19, 0
	s_add_u32 s20, s20, 1
	s_addc_u32 s21, s21, 0
	v_or_b32_e32 v30, v8, v30
	s_cmp_lg_u32 s23, 0
	v_or_b32_e32 v31, v9, v31
	s_cbranch_scc1 .LBB2_356
	s_branch .LBB2_359
.LBB2_357:                              ;   in Loop: Header=BB2_306 Depth=2
	s_branch .LBB2_360
.LBB2_358:                              ;   in Loop: Header=BB2_306 Depth=2
	v_pk_mov_b32 v[30:31], 0, 0
.LBB2_359:                              ;   in Loop: Header=BB2_306 Depth=2
	s_cbranch_execnz .LBB2_361
.LBB2_360:                              ;   in Loop: Header=BB2_306 Depth=2
	global_load_dwordx2 v[30:31], v3, s[4:5]
.LBB2_361:                              ;   in Loop: Header=BB2_306 Depth=2
	v_readfirstlane_b32 s4, v43
	v_cmp_eq_u32_e64 s[4:5], s4, v43
	v_pk_mov_b32 v[8:9], 0, 0
	s_and_saveexec_b64 s[18:19], s[4:5]
	s_cbranch_execz .LBB2_367
; %bb.362:                              ;   in Loop: Header=BB2_306 Depth=2
	global_load_dwordx2 v[34:35], v3, s[34:35] offset:24 glc
	s_waitcnt vmcnt(0)
	buffer_invl2
	buffer_wbinvl1_vol
	global_load_dwordx2 v[8:9], v3, s[34:35] offset:40
	global_load_dwordx2 v[32:33], v3, s[34:35]
	s_waitcnt vmcnt(1)
	v_and_b32_e32 v2, v8, v34
	v_and_b32_e32 v8, v9, v35
	v_mul_lo_u32 v8, v8, 24
	v_mul_hi_u32 v9, v2, 24
	v_mul_lo_u32 v2, v2, 24
	v_add_u32_e32 v9, v9, v8
	s_waitcnt vmcnt(0)
	v_add_co_u32_e32 v8, vcc, v32, v2
	v_addc_co_u32_e32 v9, vcc, v33, v9, vcc
	global_load_dwordx2 v[32:33], v[8:9], off glc
	s_waitcnt vmcnt(0)
	global_atomic_cmpswap_x2 v[8:9], v3, v[32:35], s[34:35] offset:24 glc
	s_waitcnt vmcnt(0)
	buffer_invl2
	buffer_wbinvl1_vol
	v_cmp_ne_u64_e32 vcc, v[8:9], v[34:35]
	s_and_saveexec_b64 s[20:21], vcc
	s_cbranch_execz .LBB2_366
; %bb.363:                              ;   in Loop: Header=BB2_306 Depth=2
	s_mov_b64 s[22:23], 0
.LBB2_364:                              ;   Parent Loop BB2_277 Depth=1
                                        ;     Parent Loop BB2_306 Depth=2
                                        ; =>    This Inner Loop Header: Depth=3
	s_sleep 1
	global_load_dwordx2 v[32:33], v3, s[34:35] offset:40
	global_load_dwordx2 v[38:39], v3, s[34:35]
	v_pk_mov_b32 v[34:35], v[8:9], v[8:9] op_sel:[0,1]
	s_waitcnt vmcnt(1)
	v_and_b32_e32 v2, v32, v34
	s_waitcnt vmcnt(0)
	v_mad_u64_u32 v[8:9], s[24:25], v2, 24, v[38:39]
	v_and_b32_e32 v33, v33, v35
	v_mov_b32_e32 v2, v9
	v_mad_u64_u32 v[32:33], s[24:25], v33, 24, v[2:3]
	v_mov_b32_e32 v9, v32
	global_load_dwordx2 v[32:33], v[8:9], off glc
	s_waitcnt vmcnt(0)
	global_atomic_cmpswap_x2 v[8:9], v3, v[32:35], s[34:35] offset:24 glc
	s_waitcnt vmcnt(0)
	buffer_invl2
	buffer_wbinvl1_vol
	v_cmp_eq_u64_e32 vcc, v[8:9], v[34:35]
	s_or_b64 s[22:23], vcc, s[22:23]
	s_andn2_b64 exec, exec, s[22:23]
	s_cbranch_execnz .LBB2_364
; %bb.365:                              ;   in Loop: Header=BB2_306 Depth=2
	s_or_b64 exec, exec, s[22:23]
.LBB2_366:                              ;   in Loop: Header=BB2_306 Depth=2
	s_or_b64 exec, exec, s[20:21]
.LBB2_367:                              ;   in Loop: Header=BB2_306 Depth=2
	s_or_b64 exec, exec, s[18:19]
	global_load_dwordx2 v[38:39], v3, s[34:35] offset:40
	global_load_dwordx4 v[32:35], v3, s[34:35]
	v_readfirstlane_b32 s18, v8
	v_readfirstlane_b32 s19, v9
	s_mov_b64 s[20:21], exec
	s_waitcnt vmcnt(1)
	v_readfirstlane_b32 s22, v38
	v_readfirstlane_b32 s23, v39
	s_and_b64 s[22:23], s[18:19], s[22:23]
	s_mul_i32 s24, s23, 24
	s_mul_hi_u32 s25, s22, 24
	s_mul_i32 s37, s22, 24
	s_add_i32 s24, s25, s24
	v_mov_b32_e32 v2, s24
	s_waitcnt vmcnt(0)
	v_add_co_u32_e32 v38, vcc, s37, v32
	v_addc_co_u32_e32 v39, vcc, v33, v2, vcc
	s_and_saveexec_b64 s[24:25], s[4:5]
	s_cbranch_execz .LBB2_369
; %bb.368:                              ;   in Loop: Header=BB2_306 Depth=2
	v_pk_mov_b32 v[8:9], s[20:21], s[20:21] op_sel:[0,1]
	global_store_dwordx4 v[38:39], v[8:11], off offset:8
.LBB2_369:                              ;   in Loop: Header=BB2_306 Depth=2
	s_or_b64 exec, exec, s[24:25]
	s_lshl_b64 s[20:21], s[22:23], 12
	v_mov_b32_e32 v2, s21
	v_add_co_u32_e32 v8, vcc, s20, v34
	v_addc_co_u32_e32 v9, vcc, v35, v2, vcc
	v_or_b32_e32 v2, 0, v17
	v_or_b32_e32 v34, v16, v36
	v_cmp_gt_u64_e64 vcc, s[14:15], 56
	s_lshl_b32 s20, s16, 2
	v_cndmask_b32_e32 v17, v2, v17, vcc
	v_cndmask_b32_e32 v2, v34, v16, vcc
	s_add_i32 s20, s20, 28
	s_and_b32 s20, s20, 0x1e0
	v_and_b32_e32 v2, 0xffffff1f, v2
	v_or_b32_e32 v16, s20, v2
	v_readfirstlane_b32 s20, v8
	v_readfirstlane_b32 s21, v9
	s_nop 4
	global_store_dwordx4 v42, v[16:19], s[20:21]
	global_store_dwordx4 v42, v[20:23], s[20:21] offset:16
	global_store_dwordx4 v42, v[24:27], s[20:21] offset:32
	;; [unrolled: 1-line block ×3, first 2 shown]
	s_and_saveexec_b64 s[20:21], s[4:5]
	s_cbranch_execz .LBB2_377
; %bb.370:                              ;   in Loop: Header=BB2_306 Depth=2
	global_load_dwordx2 v[24:25], v3, s[34:35] offset:32 glc
	global_load_dwordx2 v[16:17], v3, s[34:35] offset:40
	v_mov_b32_e32 v22, s18
	v_mov_b32_e32 v23, s19
	s_waitcnt vmcnt(0)
	v_readfirstlane_b32 s22, v16
	v_readfirstlane_b32 s23, v17
	s_and_b64 s[22:23], s[22:23], s[18:19]
	s_mul_i32 s23, s23, 24
	s_mul_hi_u32 s24, s22, 24
	s_mul_i32 s22, s22, 24
	s_add_i32 s23, s24, s23
	v_mov_b32_e32 v2, s23
	v_add_co_u32_e32 v20, vcc, s22, v32
	v_addc_co_u32_e32 v21, vcc, v33, v2, vcc
	global_store_dwordx2 v[20:21], v[24:25], off
	buffer_wbl2
	s_waitcnt vmcnt(0)
	global_atomic_cmpswap_x2 v[18:19], v3, v[22:25], s[34:35] offset:32 glc
	s_waitcnt vmcnt(0)
	v_cmp_ne_u64_e32 vcc, v[18:19], v[24:25]
	s_and_saveexec_b64 s[22:23], vcc
	s_cbranch_execz .LBB2_373
; %bb.371:                              ;   in Loop: Header=BB2_306 Depth=2
	s_mov_b64 s[24:25], 0
.LBB2_372:                              ;   Parent Loop BB2_277 Depth=1
                                        ;     Parent Loop BB2_306 Depth=2
                                        ; =>    This Inner Loop Header: Depth=3
	s_sleep 1
	global_store_dwordx2 v[20:21], v[18:19], off
	v_mov_b32_e32 v16, s18
	v_mov_b32_e32 v17, s19
	buffer_wbl2
	s_waitcnt vmcnt(0)
	global_atomic_cmpswap_x2 v[16:17], v3, v[16:19], s[34:35] offset:32 glc
	s_waitcnt vmcnt(0)
	v_cmp_eq_u64_e32 vcc, v[16:17], v[18:19]
	s_or_b64 s[24:25], vcc, s[24:25]
	v_pk_mov_b32 v[18:19], v[16:17], v[16:17] op_sel:[0,1]
	s_andn2_b64 exec, exec, s[24:25]
	s_cbranch_execnz .LBB2_372
.LBB2_373:                              ;   in Loop: Header=BB2_306 Depth=2
	s_or_b64 exec, exec, s[22:23]
	global_load_dwordx2 v[16:17], v3, s[34:35] offset:16
	s_mov_b64 s[24:25], exec
	v_mbcnt_lo_u32_b32 v2, s24, 0
	v_mbcnt_hi_u32_b32 v2, s25, v2
	v_cmp_eq_u32_e32 vcc, 0, v2
	s_and_saveexec_b64 s[22:23], vcc
	s_cbranch_execz .LBB2_375
; %bb.374:                              ;   in Loop: Header=BB2_306 Depth=2
	s_bcnt1_i32_b64 s24, s[24:25]
	v_mov_b32_e32 v2, s24
	buffer_wbl2
	s_waitcnt vmcnt(0)
	global_atomic_add_x2 v[16:17], v[2:3], off offset:8
.LBB2_375:                              ;   in Loop: Header=BB2_306 Depth=2
	s_or_b64 exec, exec, s[22:23]
	s_waitcnt vmcnt(0)
	global_load_dwordx2 v[18:19], v[16:17], off offset:16
	s_waitcnt vmcnt(0)
	v_cmp_eq_u64_e32 vcc, 0, v[18:19]
	s_cbranch_vccnz .LBB2_377
; %bb.376:                              ;   in Loop: Header=BB2_306 Depth=2
	global_load_dword v2, v[16:17], off offset:24
	buffer_wbl2
	s_waitcnt vmcnt(0)
	global_store_dwordx2 v[18:19], v[2:3], off
	v_and_b32_e32 v2, 0xffffff, v2
	v_readfirstlane_b32 m0, v2
	s_sendmsg sendmsg(MSG_INTERRUPT)
.LBB2_377:                              ;   in Loop: Header=BB2_306 Depth=2
	s_or_b64 exec, exec, s[20:21]
	v_add_co_u32_e32 v8, vcc, v8, v42
	v_addc_co_u32_e32 v9, vcc, 0, v9, vcc
	s_branch .LBB2_381
.LBB2_378:                              ;   in Loop: Header=BB2_381 Depth=3
	s_or_b64 exec, exec, s[20:21]
	v_readfirstlane_b32 s20, v2
	s_cmp_eq_u32 s20, 0
	s_cbranch_scc1 .LBB2_380
; %bb.379:                              ;   in Loop: Header=BB2_381 Depth=3
	s_sleep 1
	s_cbranch_execnz .LBB2_381
	s_branch .LBB2_383
.LBB2_380:                              ;   in Loop: Header=BB2_306 Depth=2
	s_branch .LBB2_383
.LBB2_381:                              ;   Parent Loop BB2_277 Depth=1
                                        ;     Parent Loop BB2_306 Depth=2
                                        ; =>    This Inner Loop Header: Depth=3
	v_mov_b32_e32 v2, 1
	s_and_saveexec_b64 s[20:21], s[4:5]
	s_cbranch_execz .LBB2_378
; %bb.382:                              ;   in Loop: Header=BB2_381 Depth=3
	global_load_dword v2, v[38:39], off offset:20 glc
	s_waitcnt vmcnt(0)
	buffer_invl2
	buffer_wbinvl1_vol
	v_and_b32_e32 v2, 1, v2
	s_branch .LBB2_378
.LBB2_383:                              ;   in Loop: Header=BB2_306 Depth=2
	global_load_dwordx4 v[16:19], v[8:9], off
	s_and_saveexec_b64 s[20:21], s[4:5]
	s_cbranch_execz .LBB2_305
; %bb.384:                              ;   in Loop: Header=BB2_306 Depth=2
	global_load_dwordx2 v[8:9], v3, s[34:35] offset:40
	global_load_dwordx2 v[22:23], v3, s[34:35] offset:24 glc
	global_load_dwordx2 v[24:25], v3, s[34:35]
	v_mov_b32_e32 v2, s19
	s_waitcnt vmcnt(2)
	v_add_co_u32_e32 v21, vcc, 1, v8
	v_addc_co_u32_e32 v26, vcc, 0, v9, vcc
	v_add_co_u32_e32 v18, vcc, s18, v21
	v_addc_co_u32_e32 v19, vcc, v26, v2, vcc
	v_cmp_eq_u64_e32 vcc, 0, v[18:19]
	v_cndmask_b32_e32 v19, v19, v26, vcc
	v_cndmask_b32_e32 v18, v18, v21, vcc
	v_and_b32_e32 v2, v19, v9
	v_and_b32_e32 v8, v18, v8
	v_mul_lo_u32 v2, v2, 24
	v_mul_hi_u32 v9, v8, 24
	v_mul_lo_u32 v8, v8, 24
	v_add_u32_e32 v2, v9, v2
	s_waitcnt vmcnt(0)
	v_add_co_u32_e32 v8, vcc, v24, v8
	v_addc_co_u32_e32 v9, vcc, v25, v2, vcc
	v_mov_b32_e32 v20, v22
	global_store_dwordx2 v[8:9], v[22:23], off
	v_mov_b32_e32 v21, v23
	buffer_wbl2
	s_waitcnt vmcnt(0)
	global_atomic_cmpswap_x2 v[20:21], v3, v[18:21], s[34:35] offset:24 glc
	s_waitcnt vmcnt(0)
	v_cmp_ne_u64_e32 vcc, v[20:21], v[22:23]
	s_and_b64 exec, exec, vcc
	s_cbranch_execz .LBB2_305
; %bb.385:                              ;   in Loop: Header=BB2_306 Depth=2
	s_mov_b64 s[4:5], 0
.LBB2_386:                              ;   Parent Loop BB2_277 Depth=1
                                        ;     Parent Loop BB2_306 Depth=2
                                        ; =>    This Inner Loop Header: Depth=3
	s_sleep 1
	global_store_dwordx2 v[8:9], v[20:21], off
	buffer_wbl2
	s_waitcnt vmcnt(0)
	global_atomic_cmpswap_x2 v[22:23], v3, v[18:21], s[34:35] offset:24 glc
	s_waitcnt vmcnt(0)
	v_cmp_eq_u64_e32 vcc, v[22:23], v[20:21]
	s_or_b64 s[4:5], vcc, s[4:5]
	v_pk_mov_b32 v[20:21], v[22:23], v[22:23] op_sel:[0,1]
	s_andn2_b64 exec, exec, s[4:5]
	s_cbranch_execnz .LBB2_386
	s_branch .LBB2_305
.LBB2_387:                              ;   in Loop: Header=BB2_277 Depth=1
	s_branch .LBB2_416
.LBB2_388:                              ;   in Loop: Header=BB2_277 Depth=1
                                        ; implicit-def: $vgpr16_vgpr17
	s_cbranch_execz .LBB2_416
; %bb.389:                              ;   in Loop: Header=BB2_277 Depth=1
	v_readfirstlane_b32 s4, v43
	v_cmp_eq_u32_e64 s[4:5], s4, v43
	v_pk_mov_b32 v[8:9], 0, 0
	s_and_saveexec_b64 s[12:13], s[4:5]
	s_cbranch_execz .LBB2_395
; %bb.390:                              ;   in Loop: Header=BB2_277 Depth=1
	global_load_dwordx2 v[18:19], v3, s[34:35] offset:24 glc
	s_waitcnt vmcnt(0)
	buffer_invl2
	buffer_wbinvl1_vol
	global_load_dwordx2 v[8:9], v3, s[34:35] offset:40
	global_load_dwordx2 v[16:17], v3, s[34:35]
	s_waitcnt vmcnt(1)
	v_and_b32_e32 v2, v8, v18
	v_and_b32_e32 v8, v9, v19
	v_mul_lo_u32 v8, v8, 24
	v_mul_hi_u32 v9, v2, 24
	v_mul_lo_u32 v2, v2, 24
	v_add_u32_e32 v9, v9, v8
	s_waitcnt vmcnt(0)
	v_add_co_u32_e32 v8, vcc, v16, v2
	v_addc_co_u32_e32 v9, vcc, v17, v9, vcc
	global_load_dwordx2 v[16:17], v[8:9], off glc
	s_waitcnt vmcnt(0)
	global_atomic_cmpswap_x2 v[8:9], v3, v[16:19], s[34:35] offset:24 glc
	s_waitcnt vmcnt(0)
	buffer_invl2
	buffer_wbinvl1_vol
	v_cmp_ne_u64_e32 vcc, v[8:9], v[18:19]
	s_and_saveexec_b64 s[14:15], vcc
	s_cbranch_execz .LBB2_394
; %bb.391:                              ;   in Loop: Header=BB2_277 Depth=1
	s_mov_b64 s[16:17], 0
.LBB2_392:                              ;   Parent Loop BB2_277 Depth=1
                                        ; =>  This Inner Loop Header: Depth=2
	s_sleep 1
	global_load_dwordx2 v[16:17], v3, s[34:35] offset:40
	global_load_dwordx2 v[20:21], v3, s[34:35]
	v_pk_mov_b32 v[18:19], v[8:9], v[8:9] op_sel:[0,1]
	s_waitcnt vmcnt(1)
	v_and_b32_e32 v2, v16, v18
	s_waitcnt vmcnt(0)
	v_mad_u64_u32 v[8:9], s[18:19], v2, 24, v[20:21]
	v_and_b32_e32 v17, v17, v19
	v_mov_b32_e32 v2, v9
	v_mad_u64_u32 v[16:17], s[18:19], v17, 24, v[2:3]
	v_mov_b32_e32 v9, v16
	global_load_dwordx2 v[16:17], v[8:9], off glc
	s_waitcnt vmcnt(0)
	global_atomic_cmpswap_x2 v[8:9], v3, v[16:19], s[34:35] offset:24 glc
	s_waitcnt vmcnt(0)
	buffer_invl2
	buffer_wbinvl1_vol
	v_cmp_eq_u64_e32 vcc, v[8:9], v[18:19]
	s_or_b64 s[16:17], vcc, s[16:17]
	s_andn2_b64 exec, exec, s[16:17]
	s_cbranch_execnz .LBB2_392
; %bb.393:                              ;   in Loop: Header=BB2_277 Depth=1
	s_or_b64 exec, exec, s[16:17]
.LBB2_394:                              ;   in Loop: Header=BB2_277 Depth=1
	s_or_b64 exec, exec, s[14:15]
.LBB2_395:                              ;   in Loop: Header=BB2_277 Depth=1
	s_or_b64 exec, exec, s[12:13]
	global_load_dwordx2 v[20:21], v3, s[34:35] offset:40
	global_load_dwordx4 v[16:19], v3, s[34:35]
	v_readfirstlane_b32 s12, v8
	v_readfirstlane_b32 s13, v9
	s_mov_b64 s[14:15], exec
	s_waitcnt vmcnt(1)
	v_readfirstlane_b32 s16, v20
	v_readfirstlane_b32 s17, v21
	s_and_b64 s[16:17], s[12:13], s[16:17]
	s_mul_i32 s18, s17, 24
	s_mul_hi_u32 s19, s16, 24
	s_mul_i32 s20, s16, 24
	s_add_i32 s18, s19, s18
	v_mov_b32_e32 v2, s18
	s_waitcnt vmcnt(0)
	v_add_co_u32_e32 v20, vcc, s20, v16
	v_addc_co_u32_e32 v21, vcc, v17, v2, vcc
	s_and_saveexec_b64 s[18:19], s[4:5]
	s_cbranch_execz .LBB2_397
; %bb.396:                              ;   in Loop: Header=BB2_277 Depth=1
	v_pk_mov_b32 v[8:9], s[14:15], s[14:15] op_sel:[0,1]
	global_store_dwordx4 v[20:21], v[8:11], off offset:8
.LBB2_397:                              ;   in Loop: Header=BB2_277 Depth=1
	s_or_b64 exec, exec, s[18:19]
	s_lshl_b64 s[14:15], s[16:17], 12
	v_mov_b32_e32 v2, s15
	v_add_co_u32_e32 v8, vcc, s14, v18
	v_addc_co_u32_e32 v9, vcc, v19, v2, vcc
	v_pk_mov_b32 v[24:25], s[10:11], s[10:11] op_sel:[0,1]
	v_and_or_b32 v0, v0, s31, 32
	v_mov_b32_e32 v2, v3
	v_readfirstlane_b32 s14, v8
	v_readfirstlane_b32 s15, v9
	v_pk_mov_b32 v[22:23], s[8:9], s[8:9] op_sel:[0,1]
	s_nop 3
	global_store_dwordx4 v42, v[0:3], s[14:15]
	global_store_dwordx4 v42, v[22:25], s[14:15] offset:16
	global_store_dwordx4 v42, v[22:25], s[14:15] offset:32
	;; [unrolled: 1-line block ×3, first 2 shown]
	s_and_saveexec_b64 s[14:15], s[4:5]
	s_cbranch_execz .LBB2_405
; %bb.398:                              ;   in Loop: Header=BB2_277 Depth=1
	global_load_dwordx2 v[24:25], v3, s[34:35] offset:32 glc
	global_load_dwordx2 v[0:1], v3, s[34:35] offset:40
	v_mov_b32_e32 v22, s12
	v_mov_b32_e32 v23, s13
	s_waitcnt vmcnt(0)
	v_readfirstlane_b32 s16, v0
	v_readfirstlane_b32 s17, v1
	s_and_b64 s[16:17], s[16:17], s[12:13]
	s_mul_i32 s17, s17, 24
	s_mul_hi_u32 s18, s16, 24
	s_mul_i32 s16, s16, 24
	s_add_i32 s17, s18, s17
	v_mov_b32_e32 v1, s17
	v_add_co_u32_e32 v0, vcc, s16, v16
	v_addc_co_u32_e32 v1, vcc, v17, v1, vcc
	global_store_dwordx2 v[0:1], v[24:25], off
	buffer_wbl2
	s_waitcnt vmcnt(0)
	global_atomic_cmpswap_x2 v[18:19], v3, v[22:25], s[34:35] offset:32 glc
	s_waitcnt vmcnt(0)
	v_cmp_ne_u64_e32 vcc, v[18:19], v[24:25]
	s_and_saveexec_b64 s[16:17], vcc
	s_cbranch_execz .LBB2_401
; %bb.399:                              ;   in Loop: Header=BB2_277 Depth=1
	s_mov_b64 s[18:19], 0
.LBB2_400:                              ;   Parent Loop BB2_277 Depth=1
                                        ; =>  This Inner Loop Header: Depth=2
	s_sleep 1
	global_store_dwordx2 v[0:1], v[18:19], off
	v_mov_b32_e32 v16, s12
	v_mov_b32_e32 v17, s13
	buffer_wbl2
	s_waitcnt vmcnt(0)
	global_atomic_cmpswap_x2 v[16:17], v3, v[16:19], s[34:35] offset:32 glc
	s_waitcnt vmcnt(0)
	v_cmp_eq_u64_e32 vcc, v[16:17], v[18:19]
	s_or_b64 s[18:19], vcc, s[18:19]
	v_pk_mov_b32 v[18:19], v[16:17], v[16:17] op_sel:[0,1]
	s_andn2_b64 exec, exec, s[18:19]
	s_cbranch_execnz .LBB2_400
.LBB2_401:                              ;   in Loop: Header=BB2_277 Depth=1
	s_or_b64 exec, exec, s[16:17]
	global_load_dwordx2 v[0:1], v3, s[34:35] offset:16
	s_mov_b64 s[18:19], exec
	v_mbcnt_lo_u32_b32 v2, s18, 0
	v_mbcnt_hi_u32_b32 v2, s19, v2
	v_cmp_eq_u32_e32 vcc, 0, v2
	s_and_saveexec_b64 s[16:17], vcc
	s_cbranch_execz .LBB2_403
; %bb.402:                              ;   in Loop: Header=BB2_277 Depth=1
	s_bcnt1_i32_b64 s18, s[18:19]
	v_mov_b32_e32 v2, s18
	buffer_wbl2
	s_waitcnt vmcnt(0)
	global_atomic_add_x2 v[0:1], v[2:3], off offset:8
.LBB2_403:                              ;   in Loop: Header=BB2_277 Depth=1
	s_or_b64 exec, exec, s[16:17]
	s_waitcnt vmcnt(0)
	global_load_dwordx2 v[16:17], v[0:1], off offset:16
	s_waitcnt vmcnt(0)
	v_cmp_eq_u64_e32 vcc, 0, v[16:17]
	s_cbranch_vccnz .LBB2_405
; %bb.404:                              ;   in Loop: Header=BB2_277 Depth=1
	global_load_dword v2, v[0:1], off offset:24
	s_waitcnt vmcnt(0)
	v_and_b32_e32 v0, 0xffffff, v2
	v_readfirstlane_b32 m0, v0
	buffer_wbl2
	global_store_dwordx2 v[16:17], v[2:3], off
	s_sendmsg sendmsg(MSG_INTERRUPT)
.LBB2_405:                              ;   in Loop: Header=BB2_277 Depth=1
	s_or_b64 exec, exec, s[14:15]
	v_add_co_u32_e32 v0, vcc, v8, v42
	v_addc_co_u32_e32 v1, vcc, 0, v9, vcc
	s_branch .LBB2_409
.LBB2_406:                              ;   in Loop: Header=BB2_409 Depth=2
	s_or_b64 exec, exec, s[14:15]
	v_readfirstlane_b32 s14, v2
	s_cmp_eq_u32 s14, 0
	s_cbranch_scc1 .LBB2_408
; %bb.407:                              ;   in Loop: Header=BB2_409 Depth=2
	s_sleep 1
	s_cbranch_execnz .LBB2_409
	s_branch .LBB2_411
.LBB2_408:                              ;   in Loop: Header=BB2_277 Depth=1
	s_branch .LBB2_411
.LBB2_409:                              ;   Parent Loop BB2_277 Depth=1
                                        ; =>  This Inner Loop Header: Depth=2
	v_mov_b32_e32 v2, 1
	s_and_saveexec_b64 s[14:15], s[4:5]
	s_cbranch_execz .LBB2_406
; %bb.410:                              ;   in Loop: Header=BB2_409 Depth=2
	global_load_dword v2, v[20:21], off offset:20 glc
	s_waitcnt vmcnt(0)
	buffer_invl2
	buffer_wbinvl1_vol
	v_and_b32_e32 v2, 1, v2
	s_branch .LBB2_406
.LBB2_411:                              ;   in Loop: Header=BB2_277 Depth=1
	global_load_dwordx2 v[16:17], v[0:1], off
	s_and_saveexec_b64 s[14:15], s[4:5]
	s_cbranch_execz .LBB2_415
; %bb.412:                              ;   in Loop: Header=BB2_277 Depth=1
	global_load_dwordx2 v[0:1], v3, s[34:35] offset:40
	global_load_dwordx2 v[8:9], v3, s[34:35] offset:24 glc
	global_load_dwordx2 v[22:23], v3, s[34:35]
	v_mov_b32_e32 v2, s13
	s_waitcnt vmcnt(2)
	v_add_co_u32_e32 v21, vcc, 1, v0
	v_addc_co_u32_e32 v24, vcc, 0, v1, vcc
	v_add_co_u32_e32 v18, vcc, s12, v21
	v_addc_co_u32_e32 v19, vcc, v24, v2, vcc
	v_cmp_eq_u64_e32 vcc, 0, v[18:19]
	v_cndmask_b32_e32 v19, v19, v24, vcc
	v_cndmask_b32_e32 v18, v18, v21, vcc
	v_and_b32_e32 v1, v19, v1
	v_and_b32_e32 v0, v18, v0
	v_mul_lo_u32 v1, v1, 24
	v_mul_hi_u32 v2, v0, 24
	v_mul_lo_u32 v0, v0, 24
	v_add_u32_e32 v1, v2, v1
	s_waitcnt vmcnt(0)
	v_add_co_u32_e32 v0, vcc, v22, v0
	v_addc_co_u32_e32 v1, vcc, v23, v1, vcc
	v_mov_b32_e32 v20, v8
	global_store_dwordx2 v[0:1], v[8:9], off
	v_mov_b32_e32 v21, v9
	buffer_wbl2
	s_waitcnt vmcnt(0)
	global_atomic_cmpswap_x2 v[20:21], v3, v[18:21], s[34:35] offset:24 glc
	s_waitcnt vmcnt(0)
	v_cmp_ne_u64_e32 vcc, v[20:21], v[8:9]
	s_and_b64 exec, exec, vcc
	s_cbranch_execz .LBB2_415
; %bb.413:                              ;   in Loop: Header=BB2_277 Depth=1
	s_mov_b64 s[4:5], 0
.LBB2_414:                              ;   Parent Loop BB2_277 Depth=1
                                        ; =>  This Inner Loop Header: Depth=2
	s_sleep 1
	global_store_dwordx2 v[0:1], v[20:21], off
	buffer_wbl2
	s_waitcnt vmcnt(0)
	global_atomic_cmpswap_x2 v[8:9], v3, v[18:21], s[34:35] offset:24 glc
	s_waitcnt vmcnt(0)
	v_cmp_eq_u64_e32 vcc, v[8:9], v[20:21]
	s_or_b64 s[4:5], vcc, s[4:5]
	v_pk_mov_b32 v[20:21], v[8:9], v[8:9] op_sel:[0,1]
	s_andn2_b64 exec, exec, s[4:5]
	s_cbranch_execnz .LBB2_414
.LBB2_415:                              ;   in Loop: Header=BB2_277 Depth=1
	s_or_b64 exec, exec, s[14:15]
.LBB2_416:                              ;   in Loop: Header=BB2_277 Depth=1
	v_readfirstlane_b32 s4, v43
	v_cmp_eq_u32_e64 s[4:5], s4, v43
	s_waitcnt vmcnt(0)
	v_pk_mov_b32 v[0:1], 0, 0
	s_and_saveexec_b64 s[12:13], s[4:5]
	s_cbranch_execz .LBB2_422
; %bb.417:                              ;   in Loop: Header=BB2_277 Depth=1
	global_load_dwordx2 v[20:21], v3, s[34:35] offset:24 glc
	s_waitcnt vmcnt(0)
	buffer_invl2
	buffer_wbinvl1_vol
	global_load_dwordx2 v[0:1], v3, s[34:35] offset:40
	global_load_dwordx2 v[8:9], v3, s[34:35]
	s_waitcnt vmcnt(1)
	v_and_b32_e32 v0, v0, v20
	v_and_b32_e32 v1, v1, v21
	v_mul_lo_u32 v1, v1, 24
	v_mul_hi_u32 v2, v0, 24
	v_mul_lo_u32 v0, v0, 24
	v_add_u32_e32 v1, v2, v1
	s_waitcnt vmcnt(0)
	v_add_co_u32_e32 v0, vcc, v8, v0
	v_addc_co_u32_e32 v1, vcc, v9, v1, vcc
	global_load_dwordx2 v[18:19], v[0:1], off glc
	s_waitcnt vmcnt(0)
	global_atomic_cmpswap_x2 v[0:1], v3, v[18:21], s[34:35] offset:24 glc
	s_waitcnt vmcnt(0)
	buffer_invl2
	buffer_wbinvl1_vol
	v_cmp_ne_u64_e32 vcc, v[0:1], v[20:21]
	s_and_saveexec_b64 s[14:15], vcc
	s_cbranch_execz .LBB2_421
; %bb.418:                              ;   in Loop: Header=BB2_277 Depth=1
	s_mov_b64 s[16:17], 0
.LBB2_419:                              ;   Parent Loop BB2_277 Depth=1
                                        ; =>  This Inner Loop Header: Depth=2
	s_sleep 1
	global_load_dwordx2 v[8:9], v3, s[34:35] offset:40
	global_load_dwordx2 v[18:19], v3, s[34:35]
	v_pk_mov_b32 v[20:21], v[0:1], v[0:1] op_sel:[0,1]
	s_waitcnt vmcnt(1)
	v_and_b32_e32 v0, v8, v20
	s_waitcnt vmcnt(0)
	v_mad_u64_u32 v[0:1], s[18:19], v0, 24, v[18:19]
	v_and_b32_e32 v9, v9, v21
	v_mov_b32_e32 v2, v1
	v_mad_u64_u32 v[8:9], s[18:19], v9, 24, v[2:3]
	v_mov_b32_e32 v1, v8
	global_load_dwordx2 v[18:19], v[0:1], off glc
	s_waitcnt vmcnt(0)
	global_atomic_cmpswap_x2 v[0:1], v3, v[18:21], s[34:35] offset:24 glc
	s_waitcnt vmcnt(0)
	buffer_invl2
	buffer_wbinvl1_vol
	v_cmp_eq_u64_e32 vcc, v[0:1], v[20:21]
	s_or_b64 s[16:17], vcc, s[16:17]
	s_andn2_b64 exec, exec, s[16:17]
	s_cbranch_execnz .LBB2_419
; %bb.420:                              ;   in Loop: Header=BB2_277 Depth=1
	s_or_b64 exec, exec, s[16:17]
.LBB2_421:                              ;   in Loop: Header=BB2_277 Depth=1
	s_or_b64 exec, exec, s[14:15]
.LBB2_422:                              ;   in Loop: Header=BB2_277 Depth=1
	s_or_b64 exec, exec, s[12:13]
	global_load_dwordx2 v[8:9], v3, s[34:35] offset:40
	global_load_dwordx4 v[20:23], v3, s[34:35]
	v_readfirstlane_b32 s12, v0
	v_readfirstlane_b32 s13, v1
	s_mov_b64 s[14:15], exec
	s_waitcnt vmcnt(1)
	v_readfirstlane_b32 s16, v8
	v_readfirstlane_b32 s17, v9
	s_and_b64 s[16:17], s[12:13], s[16:17]
	s_mul_i32 s18, s17, 24
	s_mul_hi_u32 s19, s16, 24
	s_mul_i32 s20, s16, 24
	s_add_i32 s18, s19, s18
	v_mov_b32_e32 v1, s18
	s_waitcnt vmcnt(0)
	v_add_co_u32_e32 v0, vcc, s20, v20
	v_addc_co_u32_e32 v1, vcc, v21, v1, vcc
	s_and_saveexec_b64 s[18:19], s[4:5]
	s_cbranch_execz .LBB2_424
; %bb.423:                              ;   in Loop: Header=BB2_277 Depth=1
	v_pk_mov_b32 v[8:9], s[14:15], s[14:15] op_sel:[0,1]
	global_store_dwordx4 v[0:1], v[8:11], off offset:8
.LBB2_424:                              ;   in Loop: Header=BB2_277 Depth=1
	s_or_b64 exec, exec, s[18:19]
	s_lshl_b64 s[14:15], s[16:17], 12
	v_mov_b32_e32 v8, s15
	v_add_co_u32_e32 v2, vcc, s14, v22
	v_addc_co_u32_e32 v9, vcc, v23, v8, vcc
	v_and_or_b32 v16, v16, s33, 34
	v_mov_b32_e32 v18, s36
	v_mov_b32_e32 v19, v3
	v_readfirstlane_b32 s14, v2
	v_readfirstlane_b32 s15, v9
	s_nop 4
	global_store_dwordx4 v42, v[16:19], s[14:15]
	s_nop 0
	v_pk_mov_b32 v[18:19], s[10:11], s[10:11] op_sel:[0,1]
	v_pk_mov_b32 v[16:17], s[8:9], s[8:9] op_sel:[0,1]
	global_store_dwordx4 v42, v[16:19], s[14:15] offset:16
	global_store_dwordx4 v42, v[16:19], s[14:15] offset:32
	;; [unrolled: 1-line block ×3, first 2 shown]
	s_and_saveexec_b64 s[14:15], s[4:5]
	s_cbranch_execz .LBB2_432
; %bb.425:                              ;   in Loop: Header=BB2_277 Depth=1
	global_load_dwordx2 v[24:25], v3, s[34:35] offset:32 glc
	global_load_dwordx2 v[8:9], v3, s[34:35] offset:40
	v_mov_b32_e32 v22, s12
	v_mov_b32_e32 v23, s13
	s_waitcnt vmcnt(0)
	v_readfirstlane_b32 s16, v8
	v_readfirstlane_b32 s17, v9
	s_and_b64 s[16:17], s[16:17], s[12:13]
	s_mul_i32 s17, s17, 24
	s_mul_hi_u32 s18, s16, 24
	s_mul_i32 s16, s16, 24
	s_add_i32 s17, s18, s17
	v_mov_b32_e32 v2, s17
	v_add_co_u32_e32 v8, vcc, s16, v20
	v_addc_co_u32_e32 v9, vcc, v21, v2, vcc
	global_store_dwordx2 v[8:9], v[24:25], off
	buffer_wbl2
	s_waitcnt vmcnt(0)
	global_atomic_cmpswap_x2 v[18:19], v3, v[22:25], s[34:35] offset:32 glc
	s_waitcnt vmcnt(0)
	v_cmp_ne_u64_e32 vcc, v[18:19], v[24:25]
	s_and_saveexec_b64 s[16:17], vcc
	s_cbranch_execz .LBB2_428
; %bb.426:                              ;   in Loop: Header=BB2_277 Depth=1
	s_mov_b64 s[18:19], 0
.LBB2_427:                              ;   Parent Loop BB2_277 Depth=1
                                        ; =>  This Inner Loop Header: Depth=2
	s_sleep 1
	global_store_dwordx2 v[8:9], v[18:19], off
	v_mov_b32_e32 v16, s12
	v_mov_b32_e32 v17, s13
	buffer_wbl2
	s_waitcnt vmcnt(0)
	global_atomic_cmpswap_x2 v[16:17], v3, v[16:19], s[34:35] offset:32 glc
	s_waitcnt vmcnt(0)
	v_cmp_eq_u64_e32 vcc, v[16:17], v[18:19]
	s_or_b64 s[18:19], vcc, s[18:19]
	v_pk_mov_b32 v[18:19], v[16:17], v[16:17] op_sel:[0,1]
	s_andn2_b64 exec, exec, s[18:19]
	s_cbranch_execnz .LBB2_427
.LBB2_428:                              ;   in Loop: Header=BB2_277 Depth=1
	s_or_b64 exec, exec, s[16:17]
	global_load_dwordx2 v[8:9], v3, s[34:35] offset:16
	s_mov_b64 s[18:19], exec
	v_mbcnt_lo_u32_b32 v2, s18, 0
	v_mbcnt_hi_u32_b32 v2, s19, v2
	v_cmp_eq_u32_e32 vcc, 0, v2
	s_and_saveexec_b64 s[16:17], vcc
	s_cbranch_execz .LBB2_430
; %bb.429:                              ;   in Loop: Header=BB2_277 Depth=1
	s_bcnt1_i32_b64 s18, s[18:19]
	v_mov_b32_e32 v2, s18
	buffer_wbl2
	s_waitcnt vmcnt(0)
	global_atomic_add_x2 v[8:9], v[2:3], off offset:8
.LBB2_430:                              ;   in Loop: Header=BB2_277 Depth=1
	s_or_b64 exec, exec, s[16:17]
	s_waitcnt vmcnt(0)
	global_load_dwordx2 v[16:17], v[8:9], off offset:16
	s_waitcnt vmcnt(0)
	v_cmp_eq_u64_e32 vcc, 0, v[16:17]
	s_cbranch_vccnz .LBB2_432
; %bb.431:                              ;   in Loop: Header=BB2_277 Depth=1
	global_load_dword v2, v[8:9], off offset:24
	buffer_wbl2
	s_waitcnt vmcnt(0)
	global_store_dwordx2 v[16:17], v[2:3], off
	v_and_b32_e32 v2, 0xffffff, v2
	v_readfirstlane_b32 m0, v2
	s_sendmsg sendmsg(MSG_INTERRUPT)
.LBB2_432:                              ;   in Loop: Header=BB2_277 Depth=1
	s_or_b64 exec, exec, s[14:15]
	s_branch .LBB2_436
.LBB2_433:                              ;   in Loop: Header=BB2_436 Depth=2
	s_or_b64 exec, exec, s[14:15]
	v_readfirstlane_b32 s14, v2
	s_cmp_eq_u32 s14, 0
	s_cbranch_scc1 .LBB2_435
; %bb.434:                              ;   in Loop: Header=BB2_436 Depth=2
	s_sleep 1
	s_cbranch_execnz .LBB2_436
	s_branch .LBB2_438
.LBB2_435:                              ;   in Loop: Header=BB2_277 Depth=1
	s_branch .LBB2_438
.LBB2_436:                              ;   Parent Loop BB2_277 Depth=1
                                        ; =>  This Inner Loop Header: Depth=2
	v_mov_b32_e32 v2, 1
	s_and_saveexec_b64 s[14:15], s[4:5]
	s_cbranch_execz .LBB2_433
; %bb.437:                              ;   in Loop: Header=BB2_436 Depth=2
	global_load_dword v2, v[0:1], off offset:20 glc
	s_waitcnt vmcnt(0)
	buffer_invl2
	buffer_wbinvl1_vol
	v_and_b32_e32 v2, 1, v2
	s_branch .LBB2_433
.LBB2_438:                              ;   in Loop: Header=BB2_277 Depth=1
	s_and_saveexec_b64 s[14:15], s[4:5]
	s_cbranch_execz .LBB2_276
; %bb.439:                              ;   in Loop: Header=BB2_277 Depth=1
	global_load_dwordx2 v[0:1], v3, s[34:35] offset:40
	global_load_dwordx2 v[8:9], v3, s[34:35] offset:24 glc
	global_load_dwordx2 v[20:21], v3, s[34:35]
	v_mov_b32_e32 v2, s13
	s_waitcnt vmcnt(2)
	v_add_co_u32_e32 v19, vcc, 1, v0
	v_addc_co_u32_e32 v22, vcc, 0, v1, vcc
	v_add_co_u32_e32 v16, vcc, s12, v19
	v_addc_co_u32_e32 v17, vcc, v22, v2, vcc
	v_cmp_eq_u64_e32 vcc, 0, v[16:17]
	v_cndmask_b32_e32 v17, v17, v22, vcc
	v_cndmask_b32_e32 v16, v16, v19, vcc
	v_and_b32_e32 v1, v17, v1
	v_and_b32_e32 v0, v16, v0
	v_mul_lo_u32 v1, v1, 24
	v_mul_hi_u32 v2, v0, 24
	v_mul_lo_u32 v0, v0, 24
	v_add_u32_e32 v1, v2, v1
	s_waitcnt vmcnt(0)
	v_add_co_u32_e32 v0, vcc, v20, v0
	v_addc_co_u32_e32 v1, vcc, v21, v1, vcc
	v_mov_b32_e32 v18, v8
	global_store_dwordx2 v[0:1], v[8:9], off
	v_mov_b32_e32 v19, v9
	buffer_wbl2
	s_waitcnt vmcnt(0)
	global_atomic_cmpswap_x2 v[18:19], v3, v[16:19], s[34:35] offset:24 glc
	s_waitcnt vmcnt(0)
	v_cmp_ne_u64_e32 vcc, v[18:19], v[8:9]
	s_and_b64 exec, exec, vcc
	s_cbranch_execz .LBB2_276
; %bb.440:                              ;   in Loop: Header=BB2_277 Depth=1
	s_mov_b64 s[4:5], 0
.LBB2_441:                              ;   Parent Loop BB2_277 Depth=1
                                        ; =>  This Inner Loop Header: Depth=2
	s_sleep 1
	global_store_dwordx2 v[0:1], v[18:19], off
	buffer_wbl2
	s_waitcnt vmcnt(0)
	global_atomic_cmpswap_x2 v[8:9], v3, v[16:19], s[34:35] offset:24 glc
	s_waitcnt vmcnt(0)
	v_cmp_eq_u64_e32 vcc, v[8:9], v[18:19]
	s_or_b64 s[4:5], vcc, s[4:5]
	v_pk_mov_b32 v[18:19], v[8:9], v[8:9] op_sel:[0,1]
	s_andn2_b64 exec, exec, s[4:5]
	s_cbranch_execnz .LBB2_441
	s_branch .LBB2_276
.LBB2_442:
	s_load_dwordx4 s[4:7], s[26:27], 0x0
	s_load_dwordx2 s[12:13], s[26:27], 0x10
	s_cmp_lt_i32 s28, 1
	s_cbranch_scc1 .LBB2_1174
; %bb.443:
	s_add_i32 s31, s29, s28
	s_getpc_b64 s[8:9]
	s_add_u32 s8, s8, .str.1@rel32@lo+4
	s_addc_u32 s9, s9, .str.1@rel32@hi+12
	s_cmp_lg_u64 s[8:9], 0
	s_cselect_b64 s[14:15], -1, 0
	s_getpc_b64 s[8:9]
	s_add_u32 s8, s8, .str.2@rel32@lo+4
	s_addc_u32 s9, s9, .str.2@rel32@hi+12
	s_cmp_lg_u64 s[8:9], 0
	s_cselect_b64 s[16:17], -1, 0
	;; [unrolled: 5-line block ×3, first 2 shown]
	s_waitcnt lgkmcnt(0)
	s_add_u32 s33, s4, 4
	s_mov_b32 s8, 0
	s_addc_u32 s44, s5, 0
	s_mov_b32 s10, s8
	s_mov_b32 s11, s8
	s_add_u32 s45, s6, 4
	v_mov_b32_e32 v3, 0
	s_mov_b32 s9, s8
	v_pk_mov_b32 v[16:17], s[10:11], s[10:11] op_sel:[0,1]
	s_addc_u32 s46, s7, 0
	v_mov_b32_e32 v4, 33
	s_movk_i32 s47, 0xff1f
	s_movk_i32 s48, 0xff1d
	s_waitcnt vmcnt(0)
	v_mov_b32_e32 v8, 2
	v_mov_b32_e32 v9, 1
	;; [unrolled: 1-line block ×6, first 2 shown]
	v_pk_mov_b32 v[14:15], s[8:9], s[8:9] op_sel:[0,1]
	s_mov_b32 s6, s29
	s_branch .LBB2_445
.LBB2_444:                              ;   in Loop: Header=BB2_445 Depth=1
	s_or_b64 exec, exec, s[22:23]
	s_cmp_ge_i32 s6, s31
	s_cbranch_scc1 .LBB2_1174
.LBB2_445:                              ; =>This Loop Header: Depth=1
                                        ;     Child Loop BB2_448 Depth 2
                                        ;     Child Loop BB2_456 Depth 2
	;; [unrolled: 1-line block ×9, first 2 shown]
                                        ;       Child Loop BB2_477 Depth 3
                                        ;       Child Loop BB2_484 Depth 3
	;; [unrolled: 1-line block ×11, first 2 shown]
                                        ;     Child Loop BB2_587 Depth 2
                                        ;     Child Loop BB2_595 Depth 2
	;; [unrolled: 1-line block ×13, first 2 shown]
                                        ;       Child Loop BB2_642 Depth 3
                                        ;       Child Loop BB2_649 Depth 3
	;; [unrolled: 1-line block ×11, first 2 shown]
                                        ;     Child Loop BB2_751 Depth 2
                                        ;     Child Loop BB2_842 Depth 2
	;; [unrolled: 1-line block ×6, first 2 shown]
                                        ;       Child Loop BB2_759 Depth 3
                                        ;       Child Loop BB2_766 Depth 3
	;; [unrolled: 1-line block ×11, first 2 shown]
                                        ;     Child Loop BB2_869 Depth 2
                                        ;     Child Loop BB2_877 Depth 2
	;; [unrolled: 1-line block ×13, first 2 shown]
                                        ;       Child Loop BB2_924 Depth 3
                                        ;       Child Loop BB2_931 Depth 3
	;; [unrolled: 1-line block ×11, first 2 shown]
                                        ;     Child Loop BB2_1033 Depth 2
                                        ;     Child Loop BB2_1124 Depth 2
	;; [unrolled: 1-line block ×6, first 2 shown]
                                        ;       Child Loop BB2_1041 Depth 3
                                        ;       Child Loop BB2_1048 Depth 3
	;; [unrolled: 1-line block ×11, first 2 shown]
                                        ;     Child Loop BB2_1151 Depth 2
                                        ;     Child Loop BB2_1159 Depth 2
	;; [unrolled: 1-line block ×4, first 2 shown]
	s_ashr_i32 s7, s6, 31
	s_lshl_b64 s[4:5], s[6:7], 2
	s_add_u32 s20, s33, s4
	s_addc_u32 s21, s44, s5
	s_add_u32 s4, s45, s4
	s_addc_u32 s5, s46, s5
	global_load_dword v0, v3, s[20:21]
	global_load_dword v1, v3, s[4:5]
	v_readfirstlane_b32 s4, v43
	v_cmp_eq_u32_e64 s[4:5], s4, v43
	s_waitcnt vmcnt(1)
	v_readfirstlane_b32 s29, v0
	s_waitcnt vmcnt(0)
	v_readfirstlane_b32 s7, v1
	v_pk_mov_b32 v[0:1], 0, 0
	s_and_saveexec_b64 s[20:21], s[4:5]
	s_cbranch_execz .LBB2_451
; %bb.446:                              ;   in Loop: Header=BB2_445 Depth=1
	global_load_dwordx2 v[20:21], v3, s[34:35] offset:24 glc
	s_waitcnt vmcnt(0)
	buffer_invl2
	buffer_wbinvl1_vol
	global_load_dwordx2 v[0:1], v3, s[34:35] offset:40
	global_load_dwordx2 v[6:7], v3, s[34:35]
	s_waitcnt vmcnt(1)
	v_and_b32_e32 v0, v0, v20
	v_and_b32_e32 v1, v1, v21
	v_mul_lo_u32 v1, v1, 24
	v_mul_hi_u32 v2, v0, 24
	v_mul_lo_u32 v0, v0, 24
	v_add_u32_e32 v1, v2, v1
	s_waitcnt vmcnt(0)
	v_add_co_u32_e32 v0, vcc, v6, v0
	v_addc_co_u32_e32 v1, vcc, v7, v1, vcc
	global_load_dwordx2 v[18:19], v[0:1], off glc
	s_waitcnt vmcnt(0)
	global_atomic_cmpswap_x2 v[0:1], v3, v[18:21], s[34:35] offset:24 glc
	s_waitcnt vmcnt(0)
	buffer_invl2
	buffer_wbinvl1_vol
	v_cmp_ne_u64_e32 vcc, v[0:1], v[20:21]
	s_and_saveexec_b64 s[22:23], vcc
	s_cbranch_execz .LBB2_450
; %bb.447:                              ;   in Loop: Header=BB2_445 Depth=1
	s_mov_b64 s[24:25], 0
.LBB2_448:                              ;   Parent Loop BB2_445 Depth=1
                                        ; =>  This Inner Loop Header: Depth=2
	s_sleep 1
	global_load_dwordx2 v[6:7], v3, s[34:35] offset:40
	global_load_dwordx2 v[18:19], v3, s[34:35]
	v_pk_mov_b32 v[20:21], v[0:1], v[0:1] op_sel:[0,1]
	s_waitcnt vmcnt(1)
	v_and_b32_e32 v0, v6, v20
	s_waitcnt vmcnt(0)
	v_mad_u64_u32 v[0:1], s[36:37], v0, 24, v[18:19]
	v_and_b32_e32 v5, v7, v21
	v_mov_b32_e32 v2, v1
	v_mad_u64_u32 v[6:7], s[36:37], v5, 24, v[2:3]
	v_mov_b32_e32 v1, v6
	global_load_dwordx2 v[18:19], v[0:1], off glc
	s_waitcnt vmcnt(0)
	global_atomic_cmpswap_x2 v[0:1], v3, v[18:21], s[34:35] offset:24 glc
	s_waitcnt vmcnt(0)
	buffer_invl2
	buffer_wbinvl1_vol
	v_cmp_eq_u64_e32 vcc, v[0:1], v[20:21]
	s_or_b64 s[24:25], vcc, s[24:25]
	s_andn2_b64 exec, exec, s[24:25]
	s_cbranch_execnz .LBB2_448
; %bb.449:                              ;   in Loop: Header=BB2_445 Depth=1
	s_or_b64 exec, exec, s[24:25]
.LBB2_450:                              ;   in Loop: Header=BB2_445 Depth=1
	s_or_b64 exec, exec, s[22:23]
.LBB2_451:                              ;   in Loop: Header=BB2_445 Depth=1
	s_or_b64 exec, exec, s[20:21]
	global_load_dwordx2 v[6:7], v3, s[34:35] offset:40
	global_load_dwordx4 v[18:21], v3, s[34:35]
	v_readfirstlane_b32 s20, v0
	v_readfirstlane_b32 s21, v1
	s_mov_b64 s[22:23], exec
	s_waitcnt vmcnt(1)
	v_readfirstlane_b32 s24, v6
	v_readfirstlane_b32 s25, v7
	s_and_b64 s[24:25], s[20:21], s[24:25]
	s_mul_i32 s36, s25, 24
	s_mul_hi_u32 s37, s24, 24
	s_mul_i32 s38, s24, 24
	s_add_i32 s36, s37, s36
	v_mov_b32_e32 v1, s36
	s_waitcnt vmcnt(0)
	v_add_co_u32_e32 v0, vcc, s38, v18
	v_addc_co_u32_e32 v1, vcc, v19, v1, vcc
	s_and_saveexec_b64 s[36:37], s[4:5]
	s_cbranch_execz .LBB2_453
; %bb.452:                              ;   in Loop: Header=BB2_445 Depth=1
	v_pk_mov_b32 v[6:7], s[22:23], s[22:23] op_sel:[0,1]
	global_store_dwordx4 v[0:1], v[6:9], off offset:8
.LBB2_453:                              ;   in Loop: Header=BB2_445 Depth=1
	s_or_b64 exec, exec, s[36:37]
	s_lshl_b64 s[22:23], s[24:25], 12
	v_mov_b32_e32 v2, s23
	v_add_co_u32_e32 v6, vcc, s22, v20
	v_addc_co_u32_e32 v5, vcc, v21, v2, vcc
	v_readfirstlane_b32 s22, v6
	v_readfirstlane_b32 s23, v5
	s_nop 4
	global_store_dwordx4 v42, v[10:13], s[22:23]
	global_store_dwordx4 v42, v[14:17], s[22:23] offset:16
	global_store_dwordx4 v42, v[14:17], s[22:23] offset:32
	global_store_dwordx4 v42, v[14:17], s[22:23] offset:48
	s_and_saveexec_b64 s[22:23], s[4:5]
	s_cbranch_execz .LBB2_461
; %bb.454:                              ;   in Loop: Header=BB2_445 Depth=1
	global_load_dwordx2 v[26:27], v3, s[34:35] offset:32 glc
	global_load_dwordx2 v[20:21], v3, s[34:35] offset:40
	v_mov_b32_e32 v24, s20
	v_mov_b32_e32 v25, s21
	s_waitcnt vmcnt(0)
	v_readfirstlane_b32 s24, v20
	v_readfirstlane_b32 s25, v21
	s_and_b64 s[24:25], s[24:25], s[20:21]
	s_mul_i32 s25, s25, 24
	s_mul_hi_u32 s36, s24, 24
	s_mul_i32 s24, s24, 24
	s_add_i32 s25, s36, s25
	v_mov_b32_e32 v2, s25
	v_add_co_u32_e32 v22, vcc, s24, v18
	v_addc_co_u32_e32 v23, vcc, v19, v2, vcc
	global_store_dwordx2 v[22:23], v[26:27], off
	buffer_wbl2
	s_waitcnt vmcnt(0)
	global_atomic_cmpswap_x2 v[20:21], v3, v[24:27], s[34:35] offset:32 glc
	s_waitcnt vmcnt(0)
	v_cmp_ne_u64_e32 vcc, v[20:21], v[26:27]
	s_and_saveexec_b64 s[24:25], vcc
	s_cbranch_execz .LBB2_457
; %bb.455:                              ;   in Loop: Header=BB2_445 Depth=1
	s_mov_b64 s[36:37], 0
.LBB2_456:                              ;   Parent Loop BB2_445 Depth=1
                                        ; =>  This Inner Loop Header: Depth=2
	s_sleep 1
	global_store_dwordx2 v[22:23], v[20:21], off
	v_mov_b32_e32 v18, s20
	v_mov_b32_e32 v19, s21
	buffer_wbl2
	s_waitcnt vmcnt(0)
	global_atomic_cmpswap_x2 v[18:19], v3, v[18:21], s[34:35] offset:32 glc
	s_waitcnt vmcnt(0)
	v_cmp_eq_u64_e32 vcc, v[18:19], v[20:21]
	s_or_b64 s[36:37], vcc, s[36:37]
	v_pk_mov_b32 v[20:21], v[18:19], v[18:19] op_sel:[0,1]
	s_andn2_b64 exec, exec, s[36:37]
	s_cbranch_execnz .LBB2_456
.LBB2_457:                              ;   in Loop: Header=BB2_445 Depth=1
	s_or_b64 exec, exec, s[24:25]
	global_load_dwordx2 v[18:19], v3, s[34:35] offset:16
	s_mov_b64 s[36:37], exec
	v_mbcnt_lo_u32_b32 v2, s36, 0
	v_mbcnt_hi_u32_b32 v2, s37, v2
	v_cmp_eq_u32_e32 vcc, 0, v2
	s_and_saveexec_b64 s[24:25], vcc
	s_cbranch_execz .LBB2_459
; %bb.458:                              ;   in Loop: Header=BB2_445 Depth=1
	s_bcnt1_i32_b64 s36, s[36:37]
	v_mov_b32_e32 v2, s36
	buffer_wbl2
	s_waitcnt vmcnt(0)
	global_atomic_add_x2 v[18:19], v[2:3], off offset:8
.LBB2_459:                              ;   in Loop: Header=BB2_445 Depth=1
	s_or_b64 exec, exec, s[24:25]
	s_waitcnt vmcnt(0)
	global_load_dwordx2 v[20:21], v[18:19], off offset:16
	s_waitcnt vmcnt(0)
	v_cmp_eq_u64_e32 vcc, 0, v[20:21]
	s_cbranch_vccnz .LBB2_461
; %bb.460:                              ;   in Loop: Header=BB2_445 Depth=1
	global_load_dword v2, v[18:19], off offset:24
	buffer_wbl2
	s_waitcnt vmcnt(0)
	global_store_dwordx2 v[20:21], v[2:3], off
	v_and_b32_e32 v2, 0xffffff, v2
	v_readfirstlane_b32 m0, v2
	s_sendmsg sendmsg(MSG_INTERRUPT)
.LBB2_461:                              ;   in Loop: Header=BB2_445 Depth=1
	s_or_b64 exec, exec, s[22:23]
	v_add_co_u32_e32 v6, vcc, v6, v42
	v_addc_co_u32_e32 v7, vcc, 0, v5, vcc
	s_branch .LBB2_465
.LBB2_462:                              ;   in Loop: Header=BB2_465 Depth=2
	s_or_b64 exec, exec, s[22:23]
	v_readfirstlane_b32 s22, v2
	s_cmp_eq_u32 s22, 0
	s_cbranch_scc1 .LBB2_464
; %bb.463:                              ;   in Loop: Header=BB2_465 Depth=2
	s_sleep 1
	s_cbranch_execnz .LBB2_465
	s_branch .LBB2_467
.LBB2_464:                              ;   in Loop: Header=BB2_445 Depth=1
	s_branch .LBB2_467
.LBB2_465:                              ;   Parent Loop BB2_445 Depth=1
                                        ; =>  This Inner Loop Header: Depth=2
	v_mov_b32_e32 v2, 1
	s_and_saveexec_b64 s[22:23], s[4:5]
	s_cbranch_execz .LBB2_462
; %bb.466:                              ;   in Loop: Header=BB2_465 Depth=2
	global_load_dword v2, v[0:1], off offset:20 glc
	s_waitcnt vmcnt(0)
	buffer_invl2
	buffer_wbinvl1_vol
	v_and_b32_e32 v2, 1, v2
	s_branch .LBB2_462
.LBB2_467:                              ;   in Loop: Header=BB2_445 Depth=1
	global_load_dwordx2 v[0:1], v[6:7], off
	s_and_saveexec_b64 s[22:23], s[4:5]
	s_cbranch_execz .LBB2_471
; %bb.468:                              ;   in Loop: Header=BB2_445 Depth=1
	global_load_dwordx2 v[6:7], v3, s[34:35] offset:40
	global_load_dwordx2 v[22:23], v3, s[34:35] offset:24 glc
	global_load_dwordx2 v[24:25], v3, s[34:35]
	v_mov_b32_e32 v2, s21
	s_waitcnt vmcnt(2)
	v_add_co_u32_e32 v5, vcc, 1, v6
	v_addc_co_u32_e32 v21, vcc, 0, v7, vcc
	v_add_co_u32_e32 v18, vcc, s20, v5
	v_addc_co_u32_e32 v19, vcc, v21, v2, vcc
	v_cmp_eq_u64_e32 vcc, 0, v[18:19]
	v_cndmask_b32_e32 v19, v19, v21, vcc
	v_cndmask_b32_e32 v18, v18, v5, vcc
	v_and_b32_e32 v2, v19, v7
	v_and_b32_e32 v5, v18, v6
	v_mul_lo_u32 v2, v2, 24
	v_mul_hi_u32 v6, v5, 24
	v_mul_lo_u32 v5, v5, 24
	v_add_u32_e32 v2, v6, v2
	s_waitcnt vmcnt(0)
	v_add_co_u32_e32 v6, vcc, v24, v5
	v_addc_co_u32_e32 v7, vcc, v25, v2, vcc
	v_mov_b32_e32 v20, v22
	global_store_dwordx2 v[6:7], v[22:23], off
	v_mov_b32_e32 v21, v23
	buffer_wbl2
	s_waitcnt vmcnt(0)
	global_atomic_cmpswap_x2 v[20:21], v3, v[18:21], s[34:35] offset:24 glc
	s_waitcnt vmcnt(0)
	v_cmp_ne_u64_e32 vcc, v[20:21], v[22:23]
	s_and_b64 exec, exec, vcc
	s_cbranch_execz .LBB2_471
; %bb.469:                              ;   in Loop: Header=BB2_445 Depth=1
	s_mov_b64 s[4:5], 0
.LBB2_470:                              ;   Parent Loop BB2_445 Depth=1
                                        ; =>  This Inner Loop Header: Depth=2
	s_sleep 1
	global_store_dwordx2 v[6:7], v[20:21], off
	buffer_wbl2
	s_waitcnt vmcnt(0)
	global_atomic_cmpswap_x2 v[22:23], v3, v[18:21], s[34:35] offset:24 glc
	s_waitcnt vmcnt(0)
	v_cmp_eq_u64_e32 vcc, v[22:23], v[20:21]
	s_or_b64 s[4:5], vcc, s[4:5]
	v_pk_mov_b32 v[20:21], v[22:23], v[22:23] op_sel:[0,1]
	s_andn2_b64 exec, exec, s[4:5]
	s_cbranch_execnz .LBB2_470
.LBB2_471:                              ;   in Loop: Header=BB2_445 Depth=1
	s_or_b64 exec, exec, s[22:23]
	s_and_b64 vcc, exec, s[14:15]
	s_cbranch_vccz .LBB2_556
; %bb.472:                              ;   in Loop: Header=BB2_445 Depth=1
	s_waitcnt vmcnt(0)
	v_and_b32_e32 v38, 2, v0
	v_and_b32_e32 v18, -3, v0
	v_mov_b32_e32 v19, v1
	s_mov_b64 s[22:23], 4
	s_getpc_b64 s[20:21]
	s_add_u32 s20, s20, .str.1@rel32@lo+4
	s_addc_u32 s21, s21, .str.1@rel32@hi+12
	s_branch .LBB2_474
.LBB2_473:                              ;   in Loop: Header=BB2_474 Depth=2
	s_or_b64 exec, exec, s[38:39]
	s_sub_u32 s22, s22, s24
	s_subb_u32 s23, s23, s25
	s_add_u32 s20, s20, s24
	s_addc_u32 s21, s21, s25
	s_cmp_lg_u64 s[22:23], 0
	s_cbranch_scc0 .LBB2_555
.LBB2_474:                              ;   Parent Loop BB2_445 Depth=1
                                        ; =>  This Loop Header: Depth=2
                                        ;       Child Loop BB2_477 Depth 3
                                        ;       Child Loop BB2_484 Depth 3
	;; [unrolled: 1-line block ×11, first 2 shown]
	v_cmp_lt_u64_e64 s[4:5], s[22:23], 56
	s_and_b64 s[4:5], s[4:5], exec
	v_cmp_gt_u64_e64 s[4:5], s[22:23], 7
	s_cselect_b32 s25, s23, 0
	s_cselect_b32 s24, s22, 56
	s_and_b64 vcc, exec, s[4:5]
	s_cbranch_vccnz .LBB2_479
; %bb.475:                              ;   in Loop: Header=BB2_474 Depth=2
	s_mov_b64 s[4:5], 0
	s_cmp_eq_u64 s[22:23], 0
	s_waitcnt vmcnt(0)
	v_pk_mov_b32 v[20:21], 0, 0
	s_cbranch_scc1 .LBB2_478
; %bb.476:                              ;   in Loop: Header=BB2_474 Depth=2
	s_lshl_b64 s[36:37], s[24:25], 3
	s_mov_b64 s[38:39], 0
	v_pk_mov_b32 v[20:21], 0, 0
	s_mov_b64 s[40:41], s[20:21]
.LBB2_477:                              ;   Parent Loop BB2_445 Depth=1
                                        ;     Parent Loop BB2_474 Depth=2
                                        ; =>    This Inner Loop Header: Depth=3
	global_load_ubyte v2, v3, s[40:41]
	s_waitcnt vmcnt(0)
	v_and_b32_e32 v2, 0xffff, v2
	v_lshlrev_b64 v[6:7], s38, v[2:3]
	s_add_u32 s38, s38, 8
	s_addc_u32 s39, s39, 0
	s_add_u32 s40, s40, 1
	s_addc_u32 s41, s41, 0
	v_or_b32_e32 v20, v6, v20
	s_cmp_lg_u32 s36, s38
	v_or_b32_e32 v21, v7, v21
	s_cbranch_scc1 .LBB2_477
.LBB2_478:                              ;   in Loop: Header=BB2_474 Depth=2
	s_mov_b32 s40, 0
	s_andn2_b64 vcc, exec, s[4:5]
	s_mov_b64 s[4:5], s[20:21]
	s_cbranch_vccz .LBB2_480
	s_branch .LBB2_481
.LBB2_479:                              ;   in Loop: Header=BB2_474 Depth=2
                                        ; implicit-def: $vgpr20_vgpr21
                                        ; implicit-def: $sgpr40
	s_mov_b64 s[4:5], s[20:21]
.LBB2_480:                              ;   in Loop: Header=BB2_474 Depth=2
	global_load_dwordx2 v[20:21], v3, s[20:21]
	s_add_i32 s40, s24, -8
	s_add_u32 s4, s20, 8
	s_addc_u32 s5, s21, 0
.LBB2_481:                              ;   in Loop: Header=BB2_474 Depth=2
	s_cmp_gt_u32 s40, 7
	s_cbranch_scc1 .LBB2_485
; %bb.482:                              ;   in Loop: Header=BB2_474 Depth=2
	s_cmp_eq_u32 s40, 0
	s_cbranch_scc1 .LBB2_486
; %bb.483:                              ;   in Loop: Header=BB2_474 Depth=2
	s_mov_b64 s[36:37], 0
	v_pk_mov_b32 v[22:23], 0, 0
	s_mov_b64 s[38:39], 0
.LBB2_484:                              ;   Parent Loop BB2_445 Depth=1
                                        ;     Parent Loop BB2_474 Depth=2
                                        ; =>    This Inner Loop Header: Depth=3
	s_add_u32 s42, s4, s38
	s_addc_u32 s43, s5, s39
	global_load_ubyte v2, v3, s[42:43]
	s_add_u32 s38, s38, 1
	s_addc_u32 s39, s39, 0
	s_waitcnt vmcnt(0)
	v_and_b32_e32 v2, 0xffff, v2
	v_lshlrev_b64 v[6:7], s36, v[2:3]
	s_add_u32 s36, s36, 8
	s_addc_u32 s37, s37, 0
	v_or_b32_e32 v22, v6, v22
	s_cmp_lg_u32 s40, s38
	v_or_b32_e32 v23, v7, v23
	s_cbranch_scc1 .LBB2_484
	s_branch .LBB2_487
.LBB2_485:                              ;   in Loop: Header=BB2_474 Depth=2
                                        ; implicit-def: $vgpr22_vgpr23
                                        ; implicit-def: $sgpr41
	s_branch .LBB2_488
.LBB2_486:                              ;   in Loop: Header=BB2_474 Depth=2
	v_pk_mov_b32 v[22:23], 0, 0
.LBB2_487:                              ;   in Loop: Header=BB2_474 Depth=2
	s_mov_b32 s41, 0
	s_cbranch_execnz .LBB2_489
.LBB2_488:                              ;   in Loop: Header=BB2_474 Depth=2
	global_load_dwordx2 v[22:23], v3, s[4:5]
	s_add_i32 s41, s40, -8
	s_add_u32 s4, s4, 8
	s_addc_u32 s5, s5, 0
.LBB2_489:                              ;   in Loop: Header=BB2_474 Depth=2
	s_cmp_gt_u32 s41, 7
	s_cbranch_scc1 .LBB2_493
; %bb.490:                              ;   in Loop: Header=BB2_474 Depth=2
	s_cmp_eq_u32 s41, 0
	s_cbranch_scc1 .LBB2_494
; %bb.491:                              ;   in Loop: Header=BB2_474 Depth=2
	s_mov_b64 s[36:37], 0
	v_pk_mov_b32 v[24:25], 0, 0
	s_mov_b64 s[38:39], 0
.LBB2_492:                              ;   Parent Loop BB2_445 Depth=1
                                        ;     Parent Loop BB2_474 Depth=2
                                        ; =>    This Inner Loop Header: Depth=3
	s_add_u32 s42, s4, s38
	s_addc_u32 s43, s5, s39
	global_load_ubyte v2, v3, s[42:43]
	s_add_u32 s38, s38, 1
	s_addc_u32 s39, s39, 0
	s_waitcnt vmcnt(0)
	v_and_b32_e32 v2, 0xffff, v2
	v_lshlrev_b64 v[6:7], s36, v[2:3]
	s_add_u32 s36, s36, 8
	s_addc_u32 s37, s37, 0
	v_or_b32_e32 v24, v6, v24
	s_cmp_lg_u32 s41, s38
	v_or_b32_e32 v25, v7, v25
	s_cbranch_scc1 .LBB2_492
	s_branch .LBB2_495
.LBB2_493:                              ;   in Loop: Header=BB2_474 Depth=2
                                        ; implicit-def: $sgpr40
	s_branch .LBB2_496
.LBB2_494:                              ;   in Loop: Header=BB2_474 Depth=2
	v_pk_mov_b32 v[24:25], 0, 0
.LBB2_495:                              ;   in Loop: Header=BB2_474 Depth=2
	s_mov_b32 s40, 0
	s_cbranch_execnz .LBB2_497
.LBB2_496:                              ;   in Loop: Header=BB2_474 Depth=2
	global_load_dwordx2 v[24:25], v3, s[4:5]
	s_add_i32 s40, s41, -8
	s_add_u32 s4, s4, 8
	s_addc_u32 s5, s5, 0
.LBB2_497:                              ;   in Loop: Header=BB2_474 Depth=2
	s_cmp_gt_u32 s40, 7
	s_cbranch_scc1 .LBB2_501
; %bb.498:                              ;   in Loop: Header=BB2_474 Depth=2
	s_cmp_eq_u32 s40, 0
	s_cbranch_scc1 .LBB2_502
; %bb.499:                              ;   in Loop: Header=BB2_474 Depth=2
	s_mov_b64 s[36:37], 0
	v_pk_mov_b32 v[26:27], 0, 0
	s_mov_b64 s[38:39], 0
.LBB2_500:                              ;   Parent Loop BB2_445 Depth=1
                                        ;     Parent Loop BB2_474 Depth=2
                                        ; =>    This Inner Loop Header: Depth=3
	s_add_u32 s42, s4, s38
	s_addc_u32 s43, s5, s39
	global_load_ubyte v2, v3, s[42:43]
	s_add_u32 s38, s38, 1
	s_addc_u32 s39, s39, 0
	s_waitcnt vmcnt(0)
	v_and_b32_e32 v2, 0xffff, v2
	v_lshlrev_b64 v[6:7], s36, v[2:3]
	s_add_u32 s36, s36, 8
	s_addc_u32 s37, s37, 0
	v_or_b32_e32 v26, v6, v26
	s_cmp_lg_u32 s40, s38
	v_or_b32_e32 v27, v7, v27
	s_cbranch_scc1 .LBB2_500
	s_branch .LBB2_503
.LBB2_501:                              ;   in Loop: Header=BB2_474 Depth=2
                                        ; implicit-def: $vgpr26_vgpr27
                                        ; implicit-def: $sgpr41
	s_branch .LBB2_504
.LBB2_502:                              ;   in Loop: Header=BB2_474 Depth=2
	v_pk_mov_b32 v[26:27], 0, 0
.LBB2_503:                              ;   in Loop: Header=BB2_474 Depth=2
	s_mov_b32 s41, 0
	s_cbranch_execnz .LBB2_505
.LBB2_504:                              ;   in Loop: Header=BB2_474 Depth=2
	global_load_dwordx2 v[26:27], v3, s[4:5]
	s_add_i32 s41, s40, -8
	s_add_u32 s4, s4, 8
	s_addc_u32 s5, s5, 0
.LBB2_505:                              ;   in Loop: Header=BB2_474 Depth=2
	s_cmp_gt_u32 s41, 7
	s_cbranch_scc1 .LBB2_509
; %bb.506:                              ;   in Loop: Header=BB2_474 Depth=2
	s_cmp_eq_u32 s41, 0
	s_cbranch_scc1 .LBB2_510
; %bb.507:                              ;   in Loop: Header=BB2_474 Depth=2
	s_mov_b64 s[36:37], 0
	v_pk_mov_b32 v[28:29], 0, 0
	s_mov_b64 s[38:39], 0
.LBB2_508:                              ;   Parent Loop BB2_445 Depth=1
                                        ;     Parent Loop BB2_474 Depth=2
                                        ; =>    This Inner Loop Header: Depth=3
	s_add_u32 s42, s4, s38
	s_addc_u32 s43, s5, s39
	global_load_ubyte v2, v3, s[42:43]
	s_add_u32 s38, s38, 1
	s_addc_u32 s39, s39, 0
	s_waitcnt vmcnt(0)
	v_and_b32_e32 v2, 0xffff, v2
	v_lshlrev_b64 v[6:7], s36, v[2:3]
	s_add_u32 s36, s36, 8
	s_addc_u32 s37, s37, 0
	v_or_b32_e32 v28, v6, v28
	s_cmp_lg_u32 s41, s38
	v_or_b32_e32 v29, v7, v29
	s_cbranch_scc1 .LBB2_508
	s_branch .LBB2_511
.LBB2_509:                              ;   in Loop: Header=BB2_474 Depth=2
                                        ; implicit-def: $sgpr40
	s_branch .LBB2_512
.LBB2_510:                              ;   in Loop: Header=BB2_474 Depth=2
	v_pk_mov_b32 v[28:29], 0, 0
.LBB2_511:                              ;   in Loop: Header=BB2_474 Depth=2
	s_mov_b32 s40, 0
	s_cbranch_execnz .LBB2_513
.LBB2_512:                              ;   in Loop: Header=BB2_474 Depth=2
	global_load_dwordx2 v[28:29], v3, s[4:5]
	s_add_i32 s40, s41, -8
	s_add_u32 s4, s4, 8
	s_addc_u32 s5, s5, 0
.LBB2_513:                              ;   in Loop: Header=BB2_474 Depth=2
	s_cmp_gt_u32 s40, 7
	s_cbranch_scc1 .LBB2_517
; %bb.514:                              ;   in Loop: Header=BB2_474 Depth=2
	s_cmp_eq_u32 s40, 0
	s_cbranch_scc1 .LBB2_518
; %bb.515:                              ;   in Loop: Header=BB2_474 Depth=2
	s_mov_b64 s[36:37], 0
	v_pk_mov_b32 v[30:31], 0, 0
	s_mov_b64 s[38:39], 0
.LBB2_516:                              ;   Parent Loop BB2_445 Depth=1
                                        ;     Parent Loop BB2_474 Depth=2
                                        ; =>    This Inner Loop Header: Depth=3
	s_add_u32 s42, s4, s38
	s_addc_u32 s43, s5, s39
	global_load_ubyte v2, v3, s[42:43]
	s_add_u32 s38, s38, 1
	s_addc_u32 s39, s39, 0
	s_waitcnt vmcnt(0)
	v_and_b32_e32 v2, 0xffff, v2
	v_lshlrev_b64 v[6:7], s36, v[2:3]
	s_add_u32 s36, s36, 8
	s_addc_u32 s37, s37, 0
	v_or_b32_e32 v30, v6, v30
	s_cmp_lg_u32 s40, s38
	v_or_b32_e32 v31, v7, v31
	s_cbranch_scc1 .LBB2_516
	s_branch .LBB2_519
.LBB2_517:                              ;   in Loop: Header=BB2_474 Depth=2
                                        ; implicit-def: $vgpr30_vgpr31
                                        ; implicit-def: $sgpr41
	s_branch .LBB2_520
.LBB2_518:                              ;   in Loop: Header=BB2_474 Depth=2
	v_pk_mov_b32 v[30:31], 0, 0
.LBB2_519:                              ;   in Loop: Header=BB2_474 Depth=2
	s_mov_b32 s41, 0
	s_cbranch_execnz .LBB2_521
.LBB2_520:                              ;   in Loop: Header=BB2_474 Depth=2
	global_load_dwordx2 v[30:31], v3, s[4:5]
	s_add_i32 s41, s40, -8
	s_add_u32 s4, s4, 8
	s_addc_u32 s5, s5, 0
.LBB2_521:                              ;   in Loop: Header=BB2_474 Depth=2
	s_cmp_gt_u32 s41, 7
	s_cbranch_scc1 .LBB2_525
; %bb.522:                              ;   in Loop: Header=BB2_474 Depth=2
	s_cmp_eq_u32 s41, 0
	s_cbranch_scc1 .LBB2_526
; %bb.523:                              ;   in Loop: Header=BB2_474 Depth=2
	s_mov_b64 s[36:37], 0
	v_pk_mov_b32 v[32:33], 0, 0
	s_mov_b64 s[38:39], s[4:5]
.LBB2_524:                              ;   Parent Loop BB2_445 Depth=1
                                        ;     Parent Loop BB2_474 Depth=2
                                        ; =>    This Inner Loop Header: Depth=3
	global_load_ubyte v2, v3, s[38:39]
	s_add_i32 s41, s41, -1
	s_waitcnt vmcnt(0)
	v_and_b32_e32 v2, 0xffff, v2
	v_lshlrev_b64 v[6:7], s36, v[2:3]
	s_add_u32 s36, s36, 8
	s_addc_u32 s37, s37, 0
	s_add_u32 s38, s38, 1
	s_addc_u32 s39, s39, 0
	v_or_b32_e32 v32, v6, v32
	s_cmp_lg_u32 s41, 0
	v_or_b32_e32 v33, v7, v33
	s_cbranch_scc1 .LBB2_524
	s_branch .LBB2_527
.LBB2_525:                              ;   in Loop: Header=BB2_474 Depth=2
	s_branch .LBB2_528
.LBB2_526:                              ;   in Loop: Header=BB2_474 Depth=2
	v_pk_mov_b32 v[32:33], 0, 0
.LBB2_527:                              ;   in Loop: Header=BB2_474 Depth=2
	s_cbranch_execnz .LBB2_529
.LBB2_528:                              ;   in Loop: Header=BB2_474 Depth=2
	global_load_dwordx2 v[32:33], v3, s[4:5]
.LBB2_529:                              ;   in Loop: Header=BB2_474 Depth=2
	v_readfirstlane_b32 s4, v43
	v_cmp_eq_u32_e64 s[4:5], s4, v43
	v_pk_mov_b32 v[6:7], 0, 0
	s_and_saveexec_b64 s[36:37], s[4:5]
	s_cbranch_execz .LBB2_535
; %bb.530:                              ;   in Loop: Header=BB2_474 Depth=2
	global_load_dwordx2 v[36:37], v3, s[34:35] offset:24 glc
	s_waitcnt vmcnt(0)
	buffer_invl2
	buffer_wbinvl1_vol
	global_load_dwordx2 v[6:7], v3, s[34:35] offset:40
	global_load_dwordx2 v[34:35], v3, s[34:35]
	s_waitcnt vmcnt(1)
	v_and_b32_e32 v2, v6, v36
	v_and_b32_e32 v5, v7, v37
	v_mul_lo_u32 v5, v5, 24
	v_mul_hi_u32 v6, v2, 24
	v_mul_lo_u32 v2, v2, 24
	v_add_u32_e32 v5, v6, v5
	s_waitcnt vmcnt(0)
	v_add_co_u32_e32 v6, vcc, v34, v2
	v_addc_co_u32_e32 v7, vcc, v35, v5, vcc
	global_load_dwordx2 v[34:35], v[6:7], off glc
	s_waitcnt vmcnt(0)
	global_atomic_cmpswap_x2 v[6:7], v3, v[34:37], s[34:35] offset:24 glc
	s_waitcnt vmcnt(0)
	buffer_invl2
	buffer_wbinvl1_vol
	v_cmp_ne_u64_e32 vcc, v[6:7], v[36:37]
	s_and_saveexec_b64 s[38:39], vcc
	s_cbranch_execz .LBB2_534
; %bb.531:                              ;   in Loop: Header=BB2_474 Depth=2
	s_mov_b64 s[40:41], 0
.LBB2_532:                              ;   Parent Loop BB2_445 Depth=1
                                        ;     Parent Loop BB2_474 Depth=2
                                        ; =>    This Inner Loop Header: Depth=3
	s_sleep 1
	global_load_dwordx2 v[34:35], v3, s[34:35] offset:40
	global_load_dwordx2 v[40:41], v3, s[34:35]
	v_pk_mov_b32 v[36:37], v[6:7], v[6:7] op_sel:[0,1]
	s_waitcnt vmcnt(1)
	v_and_b32_e32 v2, v34, v36
	s_waitcnt vmcnt(0)
	v_mad_u64_u32 v[6:7], s[42:43], v2, 24, v[40:41]
	v_and_b32_e32 v5, v35, v37
	v_mov_b32_e32 v2, v7
	v_mad_u64_u32 v[34:35], s[42:43], v5, 24, v[2:3]
	v_mov_b32_e32 v7, v34
	global_load_dwordx2 v[34:35], v[6:7], off glc
	s_waitcnt vmcnt(0)
	global_atomic_cmpswap_x2 v[6:7], v3, v[34:37], s[34:35] offset:24 glc
	s_waitcnt vmcnt(0)
	buffer_invl2
	buffer_wbinvl1_vol
	v_cmp_eq_u64_e32 vcc, v[6:7], v[36:37]
	s_or_b64 s[40:41], vcc, s[40:41]
	s_andn2_b64 exec, exec, s[40:41]
	s_cbranch_execnz .LBB2_532
; %bb.533:                              ;   in Loop: Header=BB2_474 Depth=2
	s_or_b64 exec, exec, s[40:41]
.LBB2_534:                              ;   in Loop: Header=BB2_474 Depth=2
	s_or_b64 exec, exec, s[38:39]
.LBB2_535:                              ;   in Loop: Header=BB2_474 Depth=2
	s_or_b64 exec, exec, s[36:37]
	global_load_dwordx2 v[40:41], v3, s[34:35] offset:40
	global_load_dwordx4 v[34:37], v3, s[34:35]
	v_readfirstlane_b32 s36, v6
	v_readfirstlane_b32 s37, v7
	s_mov_b64 s[38:39], exec
	s_waitcnt vmcnt(1)
	v_readfirstlane_b32 s40, v40
	v_readfirstlane_b32 s41, v41
	s_and_b64 s[40:41], s[36:37], s[40:41]
	s_mul_i32 s42, s41, 24
	s_mul_hi_u32 s43, s40, 24
	s_mul_i32 s49, s40, 24
	s_add_i32 s42, s43, s42
	v_mov_b32_e32 v2, s42
	s_waitcnt vmcnt(0)
	v_add_co_u32_e32 v40, vcc, s49, v34
	v_addc_co_u32_e32 v41, vcc, v35, v2, vcc
	s_and_saveexec_b64 s[42:43], s[4:5]
	s_cbranch_execz .LBB2_537
; %bb.536:                              ;   in Loop: Header=BB2_474 Depth=2
	v_pk_mov_b32 v[6:7], s[38:39], s[38:39] op_sel:[0,1]
	global_store_dwordx4 v[40:41], v[6:9], off offset:8
.LBB2_537:                              ;   in Loop: Header=BB2_474 Depth=2
	s_or_b64 exec, exec, s[42:43]
	s_lshl_b64 s[38:39], s[40:41], 12
	v_mov_b32_e32 v2, s39
	v_add_co_u32_e32 v6, vcc, s38, v36
	v_addc_co_u32_e32 v5, vcc, v37, v2, vcc
	v_or_b32_e32 v2, 0, v19
	v_or_b32_e32 v7, v18, v38
	v_cmp_gt_u64_e64 vcc, s[22:23], 56
	s_lshl_b32 s38, s24, 2
	v_cndmask_b32_e32 v19, v2, v19, vcc
	v_cndmask_b32_e32 v2, v7, v18, vcc
	s_add_i32 s38, s38, 28
	s_and_b32 s38, s38, 0x1e0
	v_and_b32_e32 v2, 0xffffff1f, v2
	v_or_b32_e32 v18, s38, v2
	v_readfirstlane_b32 s38, v6
	v_readfirstlane_b32 s39, v5
	s_nop 4
	global_store_dwordx4 v42, v[18:21], s[38:39]
	global_store_dwordx4 v42, v[22:25], s[38:39] offset:16
	global_store_dwordx4 v42, v[26:29], s[38:39] offset:32
	;; [unrolled: 1-line block ×3, first 2 shown]
	s_and_saveexec_b64 s[38:39], s[4:5]
	s_cbranch_execz .LBB2_545
; %bb.538:                              ;   in Loop: Header=BB2_474 Depth=2
	global_load_dwordx2 v[26:27], v3, s[34:35] offset:32 glc
	global_load_dwordx2 v[18:19], v3, s[34:35] offset:40
	v_mov_b32_e32 v24, s36
	v_mov_b32_e32 v25, s37
	s_waitcnt vmcnt(0)
	v_readfirstlane_b32 s40, v18
	v_readfirstlane_b32 s41, v19
	s_and_b64 s[40:41], s[40:41], s[36:37]
	s_mul_i32 s41, s41, 24
	s_mul_hi_u32 s42, s40, 24
	s_mul_i32 s40, s40, 24
	s_add_i32 s41, s42, s41
	v_mov_b32_e32 v2, s41
	v_add_co_u32_e32 v22, vcc, s40, v34
	v_addc_co_u32_e32 v23, vcc, v35, v2, vcc
	global_store_dwordx2 v[22:23], v[26:27], off
	buffer_wbl2
	s_waitcnt vmcnt(0)
	global_atomic_cmpswap_x2 v[20:21], v3, v[24:27], s[34:35] offset:32 glc
	s_waitcnt vmcnt(0)
	v_cmp_ne_u64_e32 vcc, v[20:21], v[26:27]
	s_and_saveexec_b64 s[40:41], vcc
	s_cbranch_execz .LBB2_541
; %bb.539:                              ;   in Loop: Header=BB2_474 Depth=2
	s_mov_b64 s[42:43], 0
.LBB2_540:                              ;   Parent Loop BB2_445 Depth=1
                                        ;     Parent Loop BB2_474 Depth=2
                                        ; =>    This Inner Loop Header: Depth=3
	s_sleep 1
	global_store_dwordx2 v[22:23], v[20:21], off
	v_mov_b32_e32 v18, s36
	v_mov_b32_e32 v19, s37
	buffer_wbl2
	s_waitcnt vmcnt(0)
	global_atomic_cmpswap_x2 v[18:19], v3, v[18:21], s[34:35] offset:32 glc
	s_waitcnt vmcnt(0)
	v_cmp_eq_u64_e32 vcc, v[18:19], v[20:21]
	s_or_b64 s[42:43], vcc, s[42:43]
	v_pk_mov_b32 v[20:21], v[18:19], v[18:19] op_sel:[0,1]
	s_andn2_b64 exec, exec, s[42:43]
	s_cbranch_execnz .LBB2_540
.LBB2_541:                              ;   in Loop: Header=BB2_474 Depth=2
	s_or_b64 exec, exec, s[40:41]
	global_load_dwordx2 v[18:19], v3, s[34:35] offset:16
	s_mov_b64 s[42:43], exec
	v_mbcnt_lo_u32_b32 v2, s42, 0
	v_mbcnt_hi_u32_b32 v2, s43, v2
	v_cmp_eq_u32_e32 vcc, 0, v2
	s_and_saveexec_b64 s[40:41], vcc
	s_cbranch_execz .LBB2_543
; %bb.542:                              ;   in Loop: Header=BB2_474 Depth=2
	s_bcnt1_i32_b64 s42, s[42:43]
	v_mov_b32_e32 v2, s42
	buffer_wbl2
	s_waitcnt vmcnt(0)
	global_atomic_add_x2 v[18:19], v[2:3], off offset:8
.LBB2_543:                              ;   in Loop: Header=BB2_474 Depth=2
	s_or_b64 exec, exec, s[40:41]
	s_waitcnt vmcnt(0)
	global_load_dwordx2 v[20:21], v[18:19], off offset:16
	s_waitcnt vmcnt(0)
	v_cmp_eq_u64_e32 vcc, 0, v[20:21]
	s_cbranch_vccnz .LBB2_545
; %bb.544:                              ;   in Loop: Header=BB2_474 Depth=2
	global_load_dword v2, v[18:19], off offset:24
	buffer_wbl2
	s_waitcnt vmcnt(0)
	global_store_dwordx2 v[20:21], v[2:3], off
	v_and_b32_e32 v2, 0xffffff, v2
	v_readfirstlane_b32 m0, v2
	s_sendmsg sendmsg(MSG_INTERRUPT)
.LBB2_545:                              ;   in Loop: Header=BB2_474 Depth=2
	s_or_b64 exec, exec, s[38:39]
	v_add_co_u32_e32 v6, vcc, v6, v42
	v_addc_co_u32_e32 v7, vcc, 0, v5, vcc
	s_branch .LBB2_549
.LBB2_546:                              ;   in Loop: Header=BB2_549 Depth=3
	s_or_b64 exec, exec, s[38:39]
	v_readfirstlane_b32 s38, v2
	s_cmp_eq_u32 s38, 0
	s_cbranch_scc1 .LBB2_548
; %bb.547:                              ;   in Loop: Header=BB2_549 Depth=3
	s_sleep 1
	s_cbranch_execnz .LBB2_549
	s_branch .LBB2_551
.LBB2_548:                              ;   in Loop: Header=BB2_474 Depth=2
	s_branch .LBB2_551
.LBB2_549:                              ;   Parent Loop BB2_445 Depth=1
                                        ;     Parent Loop BB2_474 Depth=2
                                        ; =>    This Inner Loop Header: Depth=3
	v_mov_b32_e32 v2, 1
	s_and_saveexec_b64 s[38:39], s[4:5]
	s_cbranch_execz .LBB2_546
; %bb.550:                              ;   in Loop: Header=BB2_549 Depth=3
	global_load_dword v2, v[40:41], off offset:20 glc
	s_waitcnt vmcnt(0)
	buffer_invl2
	buffer_wbinvl1_vol
	v_and_b32_e32 v2, 1, v2
	s_branch .LBB2_546
.LBB2_551:                              ;   in Loop: Header=BB2_474 Depth=2
	global_load_dwordx4 v[18:21], v[6:7], off
	s_and_saveexec_b64 s[38:39], s[4:5]
	s_cbranch_execz .LBB2_473
; %bb.552:                              ;   in Loop: Header=BB2_474 Depth=2
	global_load_dwordx2 v[6:7], v3, s[34:35] offset:40
	global_load_dwordx2 v[24:25], v3, s[34:35] offset:24 glc
	global_load_dwordx2 v[26:27], v3, s[34:35]
	v_mov_b32_e32 v2, s37
	s_waitcnt vmcnt(2)
	v_add_co_u32_e32 v5, vcc, 1, v6
	v_addc_co_u32_e32 v23, vcc, 0, v7, vcc
	v_add_co_u32_e32 v20, vcc, s36, v5
	v_addc_co_u32_e32 v21, vcc, v23, v2, vcc
	v_cmp_eq_u64_e32 vcc, 0, v[20:21]
	v_cndmask_b32_e32 v21, v21, v23, vcc
	v_cndmask_b32_e32 v20, v20, v5, vcc
	v_and_b32_e32 v2, v21, v7
	v_and_b32_e32 v5, v20, v6
	v_mul_lo_u32 v2, v2, 24
	v_mul_hi_u32 v6, v5, 24
	v_mul_lo_u32 v5, v5, 24
	v_add_u32_e32 v2, v6, v2
	s_waitcnt vmcnt(0)
	v_add_co_u32_e32 v6, vcc, v26, v5
	v_addc_co_u32_e32 v7, vcc, v27, v2, vcc
	v_mov_b32_e32 v22, v24
	global_store_dwordx2 v[6:7], v[24:25], off
	v_mov_b32_e32 v23, v25
	buffer_wbl2
	s_waitcnt vmcnt(0)
	global_atomic_cmpswap_x2 v[22:23], v3, v[20:23], s[34:35] offset:24 glc
	s_waitcnt vmcnt(0)
	v_cmp_ne_u64_e32 vcc, v[22:23], v[24:25]
	s_and_b64 exec, exec, vcc
	s_cbranch_execz .LBB2_473
; %bb.553:                              ;   in Loop: Header=BB2_474 Depth=2
	s_mov_b64 s[4:5], 0
.LBB2_554:                              ;   Parent Loop BB2_445 Depth=1
                                        ;     Parent Loop BB2_474 Depth=2
                                        ; =>    This Inner Loop Header: Depth=3
	s_sleep 1
	global_store_dwordx2 v[6:7], v[22:23], off
	buffer_wbl2
	s_waitcnt vmcnt(0)
	global_atomic_cmpswap_x2 v[24:25], v3, v[20:23], s[34:35] offset:24 glc
	s_waitcnt vmcnt(0)
	v_cmp_eq_u64_e32 vcc, v[24:25], v[22:23]
	s_or_b64 s[4:5], vcc, s[4:5]
	v_pk_mov_b32 v[22:23], v[24:25], v[24:25] op_sel:[0,1]
	s_andn2_b64 exec, exec, s[4:5]
	s_cbranch_execnz .LBB2_554
	s_branch .LBB2_473
.LBB2_555:                              ;   in Loop: Header=BB2_445 Depth=1
	s_branch .LBB2_584
.LBB2_556:                              ;   in Loop: Header=BB2_445 Depth=1
                                        ; implicit-def: $vgpr18_vgpr19
	s_cbranch_execz .LBB2_584
; %bb.557:                              ;   in Loop: Header=BB2_445 Depth=1
	v_readfirstlane_b32 s4, v43
	v_cmp_eq_u32_e64 s[4:5], s4, v43
	v_pk_mov_b32 v[6:7], 0, 0
	s_and_saveexec_b64 s[20:21], s[4:5]
	s_cbranch_execz .LBB2_563
; %bb.558:                              ;   in Loop: Header=BB2_445 Depth=1
	global_load_dwordx2 v[20:21], v3, s[34:35] offset:24 glc
	s_waitcnt vmcnt(0)
	buffer_invl2
	buffer_wbinvl1_vol
	global_load_dwordx2 v[6:7], v3, s[34:35] offset:40
	global_load_dwordx2 v[18:19], v3, s[34:35]
	s_waitcnt vmcnt(1)
	v_and_b32_e32 v2, v6, v20
	v_and_b32_e32 v5, v7, v21
	v_mul_lo_u32 v5, v5, 24
	v_mul_hi_u32 v6, v2, 24
	v_mul_lo_u32 v2, v2, 24
	v_add_u32_e32 v5, v6, v5
	s_waitcnt vmcnt(0)
	v_add_co_u32_e32 v6, vcc, v18, v2
	v_addc_co_u32_e32 v7, vcc, v19, v5, vcc
	global_load_dwordx2 v[18:19], v[6:7], off glc
	s_waitcnt vmcnt(0)
	global_atomic_cmpswap_x2 v[6:7], v3, v[18:21], s[34:35] offset:24 glc
	s_waitcnt vmcnt(0)
	buffer_invl2
	buffer_wbinvl1_vol
	v_cmp_ne_u64_e32 vcc, v[6:7], v[20:21]
	s_and_saveexec_b64 s[22:23], vcc
	s_cbranch_execz .LBB2_562
; %bb.559:                              ;   in Loop: Header=BB2_445 Depth=1
	s_mov_b64 s[24:25], 0
.LBB2_560:                              ;   Parent Loop BB2_445 Depth=1
                                        ; =>  This Inner Loop Header: Depth=2
	s_sleep 1
	global_load_dwordx2 v[18:19], v3, s[34:35] offset:40
	global_load_dwordx2 v[22:23], v3, s[34:35]
	v_pk_mov_b32 v[20:21], v[6:7], v[6:7] op_sel:[0,1]
	s_waitcnt vmcnt(1)
	v_and_b32_e32 v2, v18, v20
	s_waitcnt vmcnt(0)
	v_mad_u64_u32 v[6:7], s[36:37], v2, 24, v[22:23]
	v_and_b32_e32 v5, v19, v21
	v_mov_b32_e32 v2, v7
	v_mad_u64_u32 v[18:19], s[36:37], v5, 24, v[2:3]
	v_mov_b32_e32 v7, v18
	global_load_dwordx2 v[18:19], v[6:7], off glc
	s_waitcnt vmcnt(0)
	global_atomic_cmpswap_x2 v[6:7], v3, v[18:21], s[34:35] offset:24 glc
	s_waitcnt vmcnt(0)
	buffer_invl2
	buffer_wbinvl1_vol
	v_cmp_eq_u64_e32 vcc, v[6:7], v[20:21]
	s_or_b64 s[24:25], vcc, s[24:25]
	s_andn2_b64 exec, exec, s[24:25]
	s_cbranch_execnz .LBB2_560
; %bb.561:                              ;   in Loop: Header=BB2_445 Depth=1
	s_or_b64 exec, exec, s[24:25]
.LBB2_562:                              ;   in Loop: Header=BB2_445 Depth=1
	s_or_b64 exec, exec, s[22:23]
.LBB2_563:                              ;   in Loop: Header=BB2_445 Depth=1
	s_or_b64 exec, exec, s[20:21]
	global_load_dwordx2 v[22:23], v3, s[34:35] offset:40
	global_load_dwordx4 v[18:21], v3, s[34:35]
	v_readfirstlane_b32 s20, v6
	v_readfirstlane_b32 s21, v7
	s_mov_b64 s[22:23], exec
	s_waitcnt vmcnt(1)
	v_readfirstlane_b32 s24, v22
	v_readfirstlane_b32 s25, v23
	s_and_b64 s[24:25], s[20:21], s[24:25]
	s_mul_i32 s36, s25, 24
	s_mul_hi_u32 s37, s24, 24
	s_mul_i32 s38, s24, 24
	s_add_i32 s36, s37, s36
	v_mov_b32_e32 v2, s36
	s_waitcnt vmcnt(0)
	v_add_co_u32_e32 v22, vcc, s38, v18
	v_addc_co_u32_e32 v23, vcc, v19, v2, vcc
	s_and_saveexec_b64 s[36:37], s[4:5]
	s_cbranch_execz .LBB2_565
; %bb.564:                              ;   in Loop: Header=BB2_445 Depth=1
	v_pk_mov_b32 v[6:7], s[22:23], s[22:23] op_sel:[0,1]
	global_store_dwordx4 v[22:23], v[6:9], off offset:8
.LBB2_565:                              ;   in Loop: Header=BB2_445 Depth=1
	s_or_b64 exec, exec, s[36:37]
	s_lshl_b64 s[22:23], s[24:25], 12
	v_mov_b32_e32 v2, s23
	v_add_co_u32_e32 v6, vcc, s22, v20
	v_addc_co_u32_e32 v5, vcc, v21, v2, vcc
	v_pk_mov_b32 v[26:27], s[10:11], s[10:11] op_sel:[0,1]
	v_and_or_b32 v0, v0, s47, 32
	v_mov_b32_e32 v2, v3
	v_readfirstlane_b32 s22, v6
	v_readfirstlane_b32 s23, v5
	v_pk_mov_b32 v[24:25], s[8:9], s[8:9] op_sel:[0,1]
	s_nop 3
	global_store_dwordx4 v42, v[0:3], s[22:23]
	global_store_dwordx4 v42, v[24:27], s[22:23] offset:16
	global_store_dwordx4 v42, v[24:27], s[22:23] offset:32
	;; [unrolled: 1-line block ×3, first 2 shown]
	s_and_saveexec_b64 s[22:23], s[4:5]
	s_cbranch_execz .LBB2_573
; %bb.566:                              ;   in Loop: Header=BB2_445 Depth=1
	global_load_dwordx2 v[26:27], v3, s[34:35] offset:32 glc
	global_load_dwordx2 v[0:1], v3, s[34:35] offset:40
	v_mov_b32_e32 v24, s20
	v_mov_b32_e32 v25, s21
	s_waitcnt vmcnt(0)
	v_readfirstlane_b32 s24, v0
	v_readfirstlane_b32 s25, v1
	s_and_b64 s[24:25], s[24:25], s[20:21]
	s_mul_i32 s25, s25, 24
	s_mul_hi_u32 s36, s24, 24
	s_mul_i32 s24, s24, 24
	s_add_i32 s25, s36, s25
	v_mov_b32_e32 v1, s25
	v_add_co_u32_e32 v0, vcc, s24, v18
	v_addc_co_u32_e32 v1, vcc, v19, v1, vcc
	global_store_dwordx2 v[0:1], v[26:27], off
	buffer_wbl2
	s_waitcnt vmcnt(0)
	global_atomic_cmpswap_x2 v[20:21], v3, v[24:27], s[34:35] offset:32 glc
	s_waitcnt vmcnt(0)
	v_cmp_ne_u64_e32 vcc, v[20:21], v[26:27]
	s_and_saveexec_b64 s[24:25], vcc
	s_cbranch_execz .LBB2_569
; %bb.567:                              ;   in Loop: Header=BB2_445 Depth=1
	s_mov_b64 s[36:37], 0
.LBB2_568:                              ;   Parent Loop BB2_445 Depth=1
                                        ; =>  This Inner Loop Header: Depth=2
	s_sleep 1
	global_store_dwordx2 v[0:1], v[20:21], off
	v_mov_b32_e32 v18, s20
	v_mov_b32_e32 v19, s21
	buffer_wbl2
	s_waitcnt vmcnt(0)
	global_atomic_cmpswap_x2 v[18:19], v3, v[18:21], s[34:35] offset:32 glc
	s_waitcnt vmcnt(0)
	v_cmp_eq_u64_e32 vcc, v[18:19], v[20:21]
	s_or_b64 s[36:37], vcc, s[36:37]
	v_pk_mov_b32 v[20:21], v[18:19], v[18:19] op_sel:[0,1]
	s_andn2_b64 exec, exec, s[36:37]
	s_cbranch_execnz .LBB2_568
.LBB2_569:                              ;   in Loop: Header=BB2_445 Depth=1
	s_or_b64 exec, exec, s[24:25]
	global_load_dwordx2 v[0:1], v3, s[34:35] offset:16
	s_mov_b64 s[36:37], exec
	v_mbcnt_lo_u32_b32 v2, s36, 0
	v_mbcnt_hi_u32_b32 v2, s37, v2
	v_cmp_eq_u32_e32 vcc, 0, v2
	s_and_saveexec_b64 s[24:25], vcc
	s_cbranch_execz .LBB2_571
; %bb.570:                              ;   in Loop: Header=BB2_445 Depth=1
	s_bcnt1_i32_b64 s36, s[36:37]
	v_mov_b32_e32 v2, s36
	buffer_wbl2
	s_waitcnt vmcnt(0)
	global_atomic_add_x2 v[0:1], v[2:3], off offset:8
.LBB2_571:                              ;   in Loop: Header=BB2_445 Depth=1
	s_or_b64 exec, exec, s[24:25]
	s_waitcnt vmcnt(0)
	global_load_dwordx2 v[18:19], v[0:1], off offset:16
	s_waitcnt vmcnt(0)
	v_cmp_eq_u64_e32 vcc, 0, v[18:19]
	s_cbranch_vccnz .LBB2_573
; %bb.572:                              ;   in Loop: Header=BB2_445 Depth=1
	global_load_dword v2, v[0:1], off offset:24
	s_waitcnt vmcnt(0)
	v_and_b32_e32 v0, 0xffffff, v2
	v_readfirstlane_b32 m0, v0
	buffer_wbl2
	global_store_dwordx2 v[18:19], v[2:3], off
	s_sendmsg sendmsg(MSG_INTERRUPT)
.LBB2_573:                              ;   in Loop: Header=BB2_445 Depth=1
	s_or_b64 exec, exec, s[22:23]
	v_add_co_u32_e32 v0, vcc, v6, v42
	v_addc_co_u32_e32 v1, vcc, 0, v5, vcc
	s_branch .LBB2_577
.LBB2_574:                              ;   in Loop: Header=BB2_577 Depth=2
	s_or_b64 exec, exec, s[22:23]
	v_readfirstlane_b32 s22, v2
	s_cmp_eq_u32 s22, 0
	s_cbranch_scc1 .LBB2_576
; %bb.575:                              ;   in Loop: Header=BB2_577 Depth=2
	s_sleep 1
	s_cbranch_execnz .LBB2_577
	s_branch .LBB2_579
.LBB2_576:                              ;   in Loop: Header=BB2_445 Depth=1
	s_branch .LBB2_579
.LBB2_577:                              ;   Parent Loop BB2_445 Depth=1
                                        ; =>  This Inner Loop Header: Depth=2
	v_mov_b32_e32 v2, 1
	s_and_saveexec_b64 s[22:23], s[4:5]
	s_cbranch_execz .LBB2_574
; %bb.578:                              ;   in Loop: Header=BB2_577 Depth=2
	global_load_dword v2, v[22:23], off offset:20 glc
	s_waitcnt vmcnt(0)
	buffer_invl2
	buffer_wbinvl1_vol
	v_and_b32_e32 v2, 1, v2
	s_branch .LBB2_574
.LBB2_579:                              ;   in Loop: Header=BB2_445 Depth=1
	global_load_dwordx2 v[18:19], v[0:1], off
	s_and_saveexec_b64 s[22:23], s[4:5]
	s_cbranch_execz .LBB2_583
; %bb.580:                              ;   in Loop: Header=BB2_445 Depth=1
	global_load_dwordx2 v[0:1], v3, s[34:35] offset:40
	global_load_dwordx2 v[6:7], v3, s[34:35] offset:24 glc
	global_load_dwordx2 v[24:25], v3, s[34:35]
	v_mov_b32_e32 v2, s21
	s_waitcnt vmcnt(2)
	v_add_co_u32_e32 v5, vcc, 1, v0
	v_addc_co_u32_e32 v23, vcc, 0, v1, vcc
	v_add_co_u32_e32 v20, vcc, s20, v5
	v_addc_co_u32_e32 v21, vcc, v23, v2, vcc
	v_cmp_eq_u64_e32 vcc, 0, v[20:21]
	v_cndmask_b32_e32 v21, v21, v23, vcc
	v_cndmask_b32_e32 v20, v20, v5, vcc
	v_and_b32_e32 v1, v21, v1
	v_and_b32_e32 v0, v20, v0
	v_mul_lo_u32 v1, v1, 24
	v_mul_hi_u32 v2, v0, 24
	v_mul_lo_u32 v0, v0, 24
	v_add_u32_e32 v1, v2, v1
	s_waitcnt vmcnt(0)
	v_add_co_u32_e32 v0, vcc, v24, v0
	v_addc_co_u32_e32 v1, vcc, v25, v1, vcc
	v_mov_b32_e32 v22, v6
	global_store_dwordx2 v[0:1], v[6:7], off
	v_mov_b32_e32 v23, v7
	buffer_wbl2
	s_waitcnt vmcnt(0)
	global_atomic_cmpswap_x2 v[22:23], v3, v[20:23], s[34:35] offset:24 glc
	s_waitcnt vmcnt(0)
	v_cmp_ne_u64_e32 vcc, v[22:23], v[6:7]
	s_and_b64 exec, exec, vcc
	s_cbranch_execz .LBB2_583
; %bb.581:                              ;   in Loop: Header=BB2_445 Depth=1
	s_mov_b64 s[4:5], 0
.LBB2_582:                              ;   Parent Loop BB2_445 Depth=1
                                        ; =>  This Inner Loop Header: Depth=2
	s_sleep 1
	global_store_dwordx2 v[0:1], v[22:23], off
	buffer_wbl2
	s_waitcnt vmcnt(0)
	global_atomic_cmpswap_x2 v[6:7], v3, v[20:23], s[34:35] offset:24 glc
	s_waitcnt vmcnt(0)
	v_cmp_eq_u64_e32 vcc, v[6:7], v[22:23]
	s_or_b64 s[4:5], vcc, s[4:5]
	v_pk_mov_b32 v[22:23], v[6:7], v[6:7] op_sel:[0,1]
	s_andn2_b64 exec, exec, s[4:5]
	s_cbranch_execnz .LBB2_582
.LBB2_583:                              ;   in Loop: Header=BB2_445 Depth=1
	s_or_b64 exec, exec, s[22:23]
.LBB2_584:                              ;   in Loop: Header=BB2_445 Depth=1
	v_readfirstlane_b32 s4, v43
	v_cmp_eq_u32_e64 s[4:5], s4, v43
	s_waitcnt vmcnt(0)
	v_pk_mov_b32 v[0:1], 0, 0
	s_and_saveexec_b64 s[20:21], s[4:5]
	s_cbranch_execz .LBB2_590
; %bb.585:                              ;   in Loop: Header=BB2_445 Depth=1
	global_load_dwordx2 v[22:23], v3, s[34:35] offset:24 glc
	s_waitcnt vmcnt(0)
	buffer_invl2
	buffer_wbinvl1_vol
	global_load_dwordx2 v[0:1], v3, s[34:35] offset:40
	global_load_dwordx2 v[6:7], v3, s[34:35]
	s_waitcnt vmcnt(1)
	v_and_b32_e32 v0, v0, v22
	v_and_b32_e32 v1, v1, v23
	v_mul_lo_u32 v1, v1, 24
	v_mul_hi_u32 v2, v0, 24
	v_mul_lo_u32 v0, v0, 24
	v_add_u32_e32 v1, v2, v1
	s_waitcnt vmcnt(0)
	v_add_co_u32_e32 v0, vcc, v6, v0
	v_addc_co_u32_e32 v1, vcc, v7, v1, vcc
	global_load_dwordx2 v[20:21], v[0:1], off glc
	s_waitcnt vmcnt(0)
	global_atomic_cmpswap_x2 v[0:1], v3, v[20:23], s[34:35] offset:24 glc
	s_waitcnt vmcnt(0)
	buffer_invl2
	buffer_wbinvl1_vol
	v_cmp_ne_u64_e32 vcc, v[0:1], v[22:23]
	s_and_saveexec_b64 s[22:23], vcc
	s_cbranch_execz .LBB2_589
; %bb.586:                              ;   in Loop: Header=BB2_445 Depth=1
	s_mov_b64 s[24:25], 0
.LBB2_587:                              ;   Parent Loop BB2_445 Depth=1
                                        ; =>  This Inner Loop Header: Depth=2
	s_sleep 1
	global_load_dwordx2 v[6:7], v3, s[34:35] offset:40
	global_load_dwordx2 v[20:21], v3, s[34:35]
	v_pk_mov_b32 v[22:23], v[0:1], v[0:1] op_sel:[0,1]
	s_waitcnt vmcnt(1)
	v_and_b32_e32 v0, v6, v22
	s_waitcnt vmcnt(0)
	v_mad_u64_u32 v[0:1], s[36:37], v0, 24, v[20:21]
	v_and_b32_e32 v5, v7, v23
	v_mov_b32_e32 v2, v1
	v_mad_u64_u32 v[6:7], s[36:37], v5, 24, v[2:3]
	v_mov_b32_e32 v1, v6
	global_load_dwordx2 v[20:21], v[0:1], off glc
	s_waitcnt vmcnt(0)
	global_atomic_cmpswap_x2 v[0:1], v3, v[20:23], s[34:35] offset:24 glc
	s_waitcnt vmcnt(0)
	buffer_invl2
	buffer_wbinvl1_vol
	v_cmp_eq_u64_e32 vcc, v[0:1], v[22:23]
	s_or_b64 s[24:25], vcc, s[24:25]
	s_andn2_b64 exec, exec, s[24:25]
	s_cbranch_execnz .LBB2_587
; %bb.588:                              ;   in Loop: Header=BB2_445 Depth=1
	s_or_b64 exec, exec, s[24:25]
.LBB2_589:                              ;   in Loop: Header=BB2_445 Depth=1
	s_or_b64 exec, exec, s[22:23]
.LBB2_590:                              ;   in Loop: Header=BB2_445 Depth=1
	s_or_b64 exec, exec, s[20:21]
	global_load_dwordx2 v[6:7], v3, s[34:35] offset:40
	global_load_dwordx4 v[22:25], v3, s[34:35]
	v_readfirstlane_b32 s20, v0
	v_readfirstlane_b32 s21, v1
	s_mov_b64 s[22:23], exec
	s_waitcnt vmcnt(1)
	v_readfirstlane_b32 s24, v6
	v_readfirstlane_b32 s25, v7
	s_and_b64 s[24:25], s[20:21], s[24:25]
	s_mul_i32 s36, s25, 24
	s_mul_hi_u32 s37, s24, 24
	s_mul_i32 s38, s24, 24
	s_add_i32 s36, s37, s36
	v_mov_b32_e32 v1, s36
	s_waitcnt vmcnt(0)
	v_add_co_u32_e32 v0, vcc, s38, v22
	v_addc_co_u32_e32 v1, vcc, v23, v1, vcc
	s_and_saveexec_b64 s[36:37], s[4:5]
	s_cbranch_execz .LBB2_592
; %bb.591:                              ;   in Loop: Header=BB2_445 Depth=1
	v_pk_mov_b32 v[6:7], s[22:23], s[22:23] op_sel:[0,1]
	global_store_dwordx4 v[0:1], v[6:9], off offset:8
.LBB2_592:                              ;   in Loop: Header=BB2_445 Depth=1
	s_or_b64 exec, exec, s[36:37]
	s_lshl_b64 s[22:23], s[24:25], 12
	v_mov_b32_e32 v5, s23
	v_add_co_u32_e32 v2, vcc, s22, v24
	v_addc_co_u32_e32 v5, vcc, v25, v5, vcc
	s_add_i32 s6, s6, 1
	v_and_or_b32 v18, v18, s48, 34
	v_mov_b32_e32 v20, s6
	v_mov_b32_e32 v21, v3
	v_readfirstlane_b32 s22, v2
	v_readfirstlane_b32 s23, v5
	s_nop 4
	global_store_dwordx4 v42, v[18:21], s[22:23]
	s_nop 0
	v_pk_mov_b32 v[20:21], s[10:11], s[10:11] op_sel:[0,1]
	v_pk_mov_b32 v[18:19], s[8:9], s[8:9] op_sel:[0,1]
	global_store_dwordx4 v42, v[18:21], s[22:23] offset:16
	global_store_dwordx4 v42, v[18:21], s[22:23] offset:32
	;; [unrolled: 1-line block ×3, first 2 shown]
	s_and_saveexec_b64 s[22:23], s[4:5]
	s_cbranch_execz .LBB2_600
; %bb.593:                              ;   in Loop: Header=BB2_445 Depth=1
	global_load_dwordx2 v[26:27], v3, s[34:35] offset:32 glc
	global_load_dwordx2 v[6:7], v3, s[34:35] offset:40
	v_mov_b32_e32 v24, s20
	v_mov_b32_e32 v25, s21
	s_waitcnt vmcnt(0)
	v_readfirstlane_b32 s24, v6
	v_readfirstlane_b32 s25, v7
	s_and_b64 s[24:25], s[24:25], s[20:21]
	s_mul_i32 s25, s25, 24
	s_mul_hi_u32 s36, s24, 24
	s_mul_i32 s24, s24, 24
	s_add_i32 s25, s36, s25
	v_mov_b32_e32 v2, s25
	v_add_co_u32_e32 v6, vcc, s24, v22
	v_addc_co_u32_e32 v7, vcc, v23, v2, vcc
	global_store_dwordx2 v[6:7], v[26:27], off
	buffer_wbl2
	s_waitcnt vmcnt(0)
	global_atomic_cmpswap_x2 v[20:21], v3, v[24:27], s[34:35] offset:32 glc
	s_waitcnt vmcnt(0)
	v_cmp_ne_u64_e32 vcc, v[20:21], v[26:27]
	s_and_saveexec_b64 s[24:25], vcc
	s_cbranch_execz .LBB2_596
; %bb.594:                              ;   in Loop: Header=BB2_445 Depth=1
	s_mov_b64 s[36:37], 0
.LBB2_595:                              ;   Parent Loop BB2_445 Depth=1
                                        ; =>  This Inner Loop Header: Depth=2
	s_sleep 1
	global_store_dwordx2 v[6:7], v[20:21], off
	v_mov_b32_e32 v18, s20
	v_mov_b32_e32 v19, s21
	buffer_wbl2
	s_waitcnt vmcnt(0)
	global_atomic_cmpswap_x2 v[18:19], v3, v[18:21], s[34:35] offset:32 glc
	s_waitcnt vmcnt(0)
	v_cmp_eq_u64_e32 vcc, v[18:19], v[20:21]
	s_or_b64 s[36:37], vcc, s[36:37]
	v_pk_mov_b32 v[20:21], v[18:19], v[18:19] op_sel:[0,1]
	s_andn2_b64 exec, exec, s[36:37]
	s_cbranch_execnz .LBB2_595
.LBB2_596:                              ;   in Loop: Header=BB2_445 Depth=1
	s_or_b64 exec, exec, s[24:25]
	global_load_dwordx2 v[6:7], v3, s[34:35] offset:16
	s_mov_b64 s[36:37], exec
	v_mbcnt_lo_u32_b32 v2, s36, 0
	v_mbcnt_hi_u32_b32 v2, s37, v2
	v_cmp_eq_u32_e32 vcc, 0, v2
	s_and_saveexec_b64 s[24:25], vcc
	s_cbranch_execz .LBB2_598
; %bb.597:                              ;   in Loop: Header=BB2_445 Depth=1
	s_bcnt1_i32_b64 s36, s[36:37]
	v_mov_b32_e32 v2, s36
	buffer_wbl2
	s_waitcnt vmcnt(0)
	global_atomic_add_x2 v[6:7], v[2:3], off offset:8
.LBB2_598:                              ;   in Loop: Header=BB2_445 Depth=1
	s_or_b64 exec, exec, s[24:25]
	s_waitcnt vmcnt(0)
	global_load_dwordx2 v[18:19], v[6:7], off offset:16
	s_waitcnt vmcnt(0)
	v_cmp_eq_u64_e32 vcc, 0, v[18:19]
	s_cbranch_vccnz .LBB2_600
; %bb.599:                              ;   in Loop: Header=BB2_445 Depth=1
	global_load_dword v2, v[6:7], off offset:24
	buffer_wbl2
	s_waitcnt vmcnt(0)
	global_store_dwordx2 v[18:19], v[2:3], off
	v_and_b32_e32 v2, 0xffffff, v2
	v_readfirstlane_b32 m0, v2
	s_sendmsg sendmsg(MSG_INTERRUPT)
.LBB2_600:                              ;   in Loop: Header=BB2_445 Depth=1
	s_or_b64 exec, exec, s[22:23]
	s_branch .LBB2_604
.LBB2_601:                              ;   in Loop: Header=BB2_604 Depth=2
	s_or_b64 exec, exec, s[22:23]
	v_readfirstlane_b32 s22, v2
	s_cmp_eq_u32 s22, 0
	s_cbranch_scc1 .LBB2_603
; %bb.602:                              ;   in Loop: Header=BB2_604 Depth=2
	s_sleep 1
	s_cbranch_execnz .LBB2_604
	s_branch .LBB2_606
.LBB2_603:                              ;   in Loop: Header=BB2_445 Depth=1
	s_branch .LBB2_606
.LBB2_604:                              ;   Parent Loop BB2_445 Depth=1
                                        ; =>  This Inner Loop Header: Depth=2
	v_mov_b32_e32 v2, 1
	s_and_saveexec_b64 s[22:23], s[4:5]
	s_cbranch_execz .LBB2_601
; %bb.605:                              ;   in Loop: Header=BB2_604 Depth=2
	global_load_dword v2, v[0:1], off offset:20 glc
	s_waitcnt vmcnt(0)
	buffer_invl2
	buffer_wbinvl1_vol
	v_and_b32_e32 v2, 1, v2
	s_branch .LBB2_601
.LBB2_606:                              ;   in Loop: Header=BB2_445 Depth=1
	s_and_saveexec_b64 s[22:23], s[4:5]
	s_cbranch_execz .LBB2_610
; %bb.607:                              ;   in Loop: Header=BB2_445 Depth=1
	global_load_dwordx2 v[0:1], v3, s[34:35] offset:40
	global_load_dwordx2 v[6:7], v3, s[34:35] offset:24 glc
	global_load_dwordx2 v[22:23], v3, s[34:35]
	v_mov_b32_e32 v2, s21
	s_waitcnt vmcnt(2)
	v_add_co_u32_e32 v5, vcc, 1, v0
	v_addc_co_u32_e32 v21, vcc, 0, v1, vcc
	v_add_co_u32_e32 v18, vcc, s20, v5
	v_addc_co_u32_e32 v19, vcc, v21, v2, vcc
	v_cmp_eq_u64_e32 vcc, 0, v[18:19]
	v_cndmask_b32_e32 v19, v19, v21, vcc
	v_cndmask_b32_e32 v18, v18, v5, vcc
	v_and_b32_e32 v1, v19, v1
	v_and_b32_e32 v0, v18, v0
	v_mul_lo_u32 v1, v1, 24
	v_mul_hi_u32 v2, v0, 24
	v_mul_lo_u32 v0, v0, 24
	v_add_u32_e32 v1, v2, v1
	s_waitcnt vmcnt(0)
	v_add_co_u32_e32 v0, vcc, v22, v0
	v_addc_co_u32_e32 v1, vcc, v23, v1, vcc
	v_mov_b32_e32 v20, v6
	global_store_dwordx2 v[0:1], v[6:7], off
	v_mov_b32_e32 v21, v7
	buffer_wbl2
	s_waitcnt vmcnt(0)
	global_atomic_cmpswap_x2 v[20:21], v3, v[18:21], s[34:35] offset:24 glc
	s_waitcnt vmcnt(0)
	v_cmp_ne_u64_e32 vcc, v[20:21], v[6:7]
	s_and_b64 exec, exec, vcc
	s_cbranch_execz .LBB2_610
; %bb.608:                              ;   in Loop: Header=BB2_445 Depth=1
	s_mov_b64 s[4:5], 0
.LBB2_609:                              ;   Parent Loop BB2_445 Depth=1
                                        ; =>  This Inner Loop Header: Depth=2
	s_sleep 1
	global_store_dwordx2 v[0:1], v[20:21], off
	buffer_wbl2
	s_waitcnt vmcnt(0)
	global_atomic_cmpswap_x2 v[6:7], v3, v[18:21], s[34:35] offset:24 glc
	s_waitcnt vmcnt(0)
	v_cmp_eq_u64_e32 vcc, v[6:7], v[20:21]
	s_or_b64 s[4:5], vcc, s[4:5]
	v_pk_mov_b32 v[20:21], v[6:7], v[6:7] op_sel:[0,1]
	s_andn2_b64 exec, exec, s[4:5]
	s_cbranch_execnz .LBB2_609
.LBB2_610:                              ;   in Loop: Header=BB2_445 Depth=1
	s_or_b64 exec, exec, s[22:23]
	v_readfirstlane_b32 s4, v43
	v_cmp_eq_u32_e64 s[4:5], s4, v43
	v_pk_mov_b32 v[0:1], 0, 0
	s_and_saveexec_b64 s[20:21], s[4:5]
	s_cbranch_execz .LBB2_616
; %bb.611:                              ;   in Loop: Header=BB2_445 Depth=1
	global_load_dwordx2 v[20:21], v3, s[34:35] offset:24 glc
	s_waitcnt vmcnt(0)
	buffer_invl2
	buffer_wbinvl1_vol
	global_load_dwordx2 v[0:1], v3, s[34:35] offset:40
	global_load_dwordx2 v[6:7], v3, s[34:35]
	s_waitcnt vmcnt(1)
	v_and_b32_e32 v0, v0, v20
	v_and_b32_e32 v1, v1, v21
	v_mul_lo_u32 v1, v1, 24
	v_mul_hi_u32 v2, v0, 24
	v_mul_lo_u32 v0, v0, 24
	v_add_u32_e32 v1, v2, v1
	s_waitcnt vmcnt(0)
	v_add_co_u32_e32 v0, vcc, v6, v0
	v_addc_co_u32_e32 v1, vcc, v7, v1, vcc
	global_load_dwordx2 v[18:19], v[0:1], off glc
	s_waitcnt vmcnt(0)
	global_atomic_cmpswap_x2 v[0:1], v3, v[18:21], s[34:35] offset:24 glc
	s_waitcnt vmcnt(0)
	buffer_invl2
	buffer_wbinvl1_vol
	v_cmp_ne_u64_e32 vcc, v[0:1], v[20:21]
	s_and_saveexec_b64 s[22:23], vcc
	s_cbranch_execz .LBB2_615
; %bb.612:                              ;   in Loop: Header=BB2_445 Depth=1
	s_mov_b64 s[24:25], 0
.LBB2_613:                              ;   Parent Loop BB2_445 Depth=1
                                        ; =>  This Inner Loop Header: Depth=2
	s_sleep 1
	global_load_dwordx2 v[6:7], v3, s[34:35] offset:40
	global_load_dwordx2 v[18:19], v3, s[34:35]
	v_pk_mov_b32 v[20:21], v[0:1], v[0:1] op_sel:[0,1]
	s_waitcnt vmcnt(1)
	v_and_b32_e32 v0, v6, v20
	s_waitcnt vmcnt(0)
	v_mad_u64_u32 v[0:1], s[36:37], v0, 24, v[18:19]
	v_and_b32_e32 v5, v7, v21
	v_mov_b32_e32 v2, v1
	v_mad_u64_u32 v[6:7], s[36:37], v5, 24, v[2:3]
	v_mov_b32_e32 v1, v6
	global_load_dwordx2 v[18:19], v[0:1], off glc
	s_waitcnt vmcnt(0)
	global_atomic_cmpswap_x2 v[0:1], v3, v[18:21], s[34:35] offset:24 glc
	s_waitcnt vmcnt(0)
	buffer_invl2
	buffer_wbinvl1_vol
	v_cmp_eq_u64_e32 vcc, v[0:1], v[20:21]
	s_or_b64 s[24:25], vcc, s[24:25]
	s_andn2_b64 exec, exec, s[24:25]
	s_cbranch_execnz .LBB2_613
; %bb.614:                              ;   in Loop: Header=BB2_445 Depth=1
	s_or_b64 exec, exec, s[24:25]
.LBB2_615:                              ;   in Loop: Header=BB2_445 Depth=1
	s_or_b64 exec, exec, s[22:23]
.LBB2_616:                              ;   in Loop: Header=BB2_445 Depth=1
	s_or_b64 exec, exec, s[20:21]
	global_load_dwordx2 v[6:7], v3, s[34:35] offset:40
	global_load_dwordx4 v[18:21], v3, s[34:35]
	v_readfirstlane_b32 s20, v0
	v_readfirstlane_b32 s21, v1
	s_mov_b64 s[22:23], exec
	s_waitcnt vmcnt(1)
	v_readfirstlane_b32 s24, v6
	v_readfirstlane_b32 s25, v7
	s_and_b64 s[24:25], s[20:21], s[24:25]
	s_mul_i32 s36, s25, 24
	s_mul_hi_u32 s37, s24, 24
	s_mul_i32 s38, s24, 24
	s_add_i32 s36, s37, s36
	v_mov_b32_e32 v1, s36
	s_waitcnt vmcnt(0)
	v_add_co_u32_e32 v0, vcc, s38, v18
	v_addc_co_u32_e32 v1, vcc, v19, v1, vcc
	s_and_saveexec_b64 s[36:37], s[4:5]
	s_cbranch_execz .LBB2_618
; %bb.617:                              ;   in Loop: Header=BB2_445 Depth=1
	v_pk_mov_b32 v[6:7], s[22:23], s[22:23] op_sel:[0,1]
	global_store_dwordx4 v[0:1], v[6:9], off offset:8
.LBB2_618:                              ;   in Loop: Header=BB2_445 Depth=1
	s_or_b64 exec, exec, s[36:37]
	s_lshl_b64 s[22:23], s[24:25], 12
	v_mov_b32_e32 v2, s23
	v_add_co_u32_e32 v22, vcc, s22, v20
	v_addc_co_u32_e32 v23, vcc, v21, v2, vcc
	v_pk_mov_b32 v[26:27], s[10:11], s[10:11] op_sel:[0,1]
	v_mov_b32_e32 v5, v3
	v_mov_b32_e32 v6, v3
	;; [unrolled: 1-line block ×3, first 2 shown]
	v_readfirstlane_b32 s22, v22
	v_readfirstlane_b32 s23, v23
	v_pk_mov_b32 v[24:25], s[8:9], s[8:9] op_sel:[0,1]
	s_nop 3
	global_store_dwordx4 v42, v[4:7], s[22:23]
	global_store_dwordx4 v42, v[24:27], s[22:23] offset:16
	global_store_dwordx4 v42, v[24:27], s[22:23] offset:32
	global_store_dwordx4 v42, v[24:27], s[22:23] offset:48
	s_and_saveexec_b64 s[22:23], s[4:5]
	s_cbranch_execz .LBB2_626
; %bb.619:                              ;   in Loop: Header=BB2_445 Depth=1
	global_load_dwordx2 v[26:27], v3, s[34:35] offset:32 glc
	global_load_dwordx2 v[6:7], v3, s[34:35] offset:40
	v_mov_b32_e32 v24, s20
	v_mov_b32_e32 v25, s21
	s_waitcnt vmcnt(0)
	v_readfirstlane_b32 s24, v6
	v_readfirstlane_b32 s25, v7
	s_and_b64 s[24:25], s[24:25], s[20:21]
	s_mul_i32 s25, s25, 24
	s_mul_hi_u32 s36, s24, 24
	s_mul_i32 s24, s24, 24
	s_add_i32 s25, s36, s25
	v_mov_b32_e32 v2, s25
	v_add_co_u32_e32 v6, vcc, s24, v18
	v_addc_co_u32_e32 v7, vcc, v19, v2, vcc
	global_store_dwordx2 v[6:7], v[26:27], off
	buffer_wbl2
	s_waitcnt vmcnt(0)
	global_atomic_cmpswap_x2 v[20:21], v3, v[24:27], s[34:35] offset:32 glc
	s_waitcnt vmcnt(0)
	v_cmp_ne_u64_e32 vcc, v[20:21], v[26:27]
	s_and_saveexec_b64 s[24:25], vcc
	s_cbranch_execz .LBB2_622
; %bb.620:                              ;   in Loop: Header=BB2_445 Depth=1
	s_mov_b64 s[36:37], 0
.LBB2_621:                              ;   Parent Loop BB2_445 Depth=1
                                        ; =>  This Inner Loop Header: Depth=2
	s_sleep 1
	global_store_dwordx2 v[6:7], v[20:21], off
	v_mov_b32_e32 v18, s20
	v_mov_b32_e32 v19, s21
	buffer_wbl2
	s_waitcnt vmcnt(0)
	global_atomic_cmpswap_x2 v[18:19], v3, v[18:21], s[34:35] offset:32 glc
	s_waitcnt vmcnt(0)
	v_cmp_eq_u64_e32 vcc, v[18:19], v[20:21]
	s_or_b64 s[36:37], vcc, s[36:37]
	v_pk_mov_b32 v[20:21], v[18:19], v[18:19] op_sel:[0,1]
	s_andn2_b64 exec, exec, s[36:37]
	s_cbranch_execnz .LBB2_621
.LBB2_622:                              ;   in Loop: Header=BB2_445 Depth=1
	s_or_b64 exec, exec, s[24:25]
	global_load_dwordx2 v[6:7], v3, s[34:35] offset:16
	s_mov_b64 s[36:37], exec
	v_mbcnt_lo_u32_b32 v2, s36, 0
	v_mbcnt_hi_u32_b32 v2, s37, v2
	v_cmp_eq_u32_e32 vcc, 0, v2
	s_and_saveexec_b64 s[24:25], vcc
	s_cbranch_execz .LBB2_624
; %bb.623:                              ;   in Loop: Header=BB2_445 Depth=1
	s_bcnt1_i32_b64 s36, s[36:37]
	v_mov_b32_e32 v2, s36
	buffer_wbl2
	s_waitcnt vmcnt(0)
	global_atomic_add_x2 v[6:7], v[2:3], off offset:8
.LBB2_624:                              ;   in Loop: Header=BB2_445 Depth=1
	s_or_b64 exec, exec, s[24:25]
	s_waitcnt vmcnt(0)
	global_load_dwordx2 v[18:19], v[6:7], off offset:16
	s_waitcnt vmcnt(0)
	v_cmp_eq_u64_e32 vcc, 0, v[18:19]
	s_cbranch_vccnz .LBB2_626
; %bb.625:                              ;   in Loop: Header=BB2_445 Depth=1
	global_load_dword v2, v[6:7], off offset:24
	buffer_wbl2
	s_waitcnt vmcnt(0)
	global_store_dwordx2 v[18:19], v[2:3], off
	v_and_b32_e32 v2, 0xffffff, v2
	v_readfirstlane_b32 m0, v2
	s_sendmsg sendmsg(MSG_INTERRUPT)
.LBB2_626:                              ;   in Loop: Header=BB2_445 Depth=1
	s_or_b64 exec, exec, s[22:23]
	v_add_co_u32_e32 v6, vcc, v22, v42
	v_addc_co_u32_e32 v7, vcc, 0, v23, vcc
	s_branch .LBB2_630
.LBB2_627:                              ;   in Loop: Header=BB2_630 Depth=2
	s_or_b64 exec, exec, s[22:23]
	v_readfirstlane_b32 s22, v2
	s_cmp_eq_u32 s22, 0
	s_cbranch_scc1 .LBB2_629
; %bb.628:                              ;   in Loop: Header=BB2_630 Depth=2
	s_sleep 1
	s_cbranch_execnz .LBB2_630
	s_branch .LBB2_632
.LBB2_629:                              ;   in Loop: Header=BB2_445 Depth=1
	s_branch .LBB2_632
.LBB2_630:                              ;   Parent Loop BB2_445 Depth=1
                                        ; =>  This Inner Loop Header: Depth=2
	v_mov_b32_e32 v2, 1
	s_and_saveexec_b64 s[22:23], s[4:5]
	s_cbranch_execz .LBB2_627
; %bb.631:                              ;   in Loop: Header=BB2_630 Depth=2
	global_load_dword v2, v[0:1], off offset:20 glc
	s_waitcnt vmcnt(0)
	buffer_invl2
	buffer_wbinvl1_vol
	v_and_b32_e32 v2, 1, v2
	s_branch .LBB2_627
.LBB2_632:                              ;   in Loop: Header=BB2_445 Depth=1
	global_load_dwordx2 v[0:1], v[6:7], off
	s_and_saveexec_b64 s[22:23], s[4:5]
	s_cbranch_execz .LBB2_636
; %bb.633:                              ;   in Loop: Header=BB2_445 Depth=1
	global_load_dwordx2 v[6:7], v3, s[34:35] offset:40
	global_load_dwordx2 v[22:23], v3, s[34:35] offset:24 glc
	global_load_dwordx2 v[24:25], v3, s[34:35]
	v_mov_b32_e32 v2, s21
	s_waitcnt vmcnt(2)
	v_add_co_u32_e32 v5, vcc, 1, v6
	v_addc_co_u32_e32 v21, vcc, 0, v7, vcc
	v_add_co_u32_e32 v18, vcc, s20, v5
	v_addc_co_u32_e32 v19, vcc, v21, v2, vcc
	v_cmp_eq_u64_e32 vcc, 0, v[18:19]
	v_cndmask_b32_e32 v19, v19, v21, vcc
	v_cndmask_b32_e32 v18, v18, v5, vcc
	v_and_b32_e32 v2, v19, v7
	v_and_b32_e32 v5, v18, v6
	v_mul_lo_u32 v2, v2, 24
	v_mul_hi_u32 v6, v5, 24
	v_mul_lo_u32 v5, v5, 24
	v_add_u32_e32 v2, v6, v2
	s_waitcnt vmcnt(0)
	v_add_co_u32_e32 v6, vcc, v24, v5
	v_addc_co_u32_e32 v7, vcc, v25, v2, vcc
	v_mov_b32_e32 v20, v22
	global_store_dwordx2 v[6:7], v[22:23], off
	v_mov_b32_e32 v21, v23
	buffer_wbl2
	s_waitcnt vmcnt(0)
	global_atomic_cmpswap_x2 v[20:21], v3, v[18:21], s[34:35] offset:24 glc
	s_waitcnt vmcnt(0)
	v_cmp_ne_u64_e32 vcc, v[20:21], v[22:23]
	s_and_b64 exec, exec, vcc
	s_cbranch_execz .LBB2_636
; %bb.634:                              ;   in Loop: Header=BB2_445 Depth=1
	s_mov_b64 s[4:5], 0
.LBB2_635:                              ;   Parent Loop BB2_445 Depth=1
                                        ; =>  This Inner Loop Header: Depth=2
	s_sleep 1
	global_store_dwordx2 v[6:7], v[20:21], off
	buffer_wbl2
	s_waitcnt vmcnt(0)
	global_atomic_cmpswap_x2 v[22:23], v3, v[18:21], s[34:35] offset:24 glc
	s_waitcnt vmcnt(0)
	v_cmp_eq_u64_e32 vcc, v[22:23], v[20:21]
	s_or_b64 s[4:5], vcc, s[4:5]
	v_pk_mov_b32 v[20:21], v[22:23], v[22:23] op_sel:[0,1]
	s_andn2_b64 exec, exec, s[4:5]
	s_cbranch_execnz .LBB2_635
.LBB2_636:                              ;   in Loop: Header=BB2_445 Depth=1
	s_or_b64 exec, exec, s[22:23]
	s_and_b64 vcc, exec, s[16:17]
	s_cbranch_vccz .LBB2_721
; %bb.637:                              ;   in Loop: Header=BB2_445 Depth=1
	s_waitcnt vmcnt(0)
	v_and_b32_e32 v38, 2, v0
	v_and_b32_e32 v18, -3, v0
	v_mov_b32_e32 v19, v1
	s_mov_b64 s[22:23], 6
	s_getpc_b64 s[20:21]
	s_add_u32 s20, s20, .str.2@rel32@lo+4
	s_addc_u32 s21, s21, .str.2@rel32@hi+12
	s_branch .LBB2_639
.LBB2_638:                              ;   in Loop: Header=BB2_639 Depth=2
	s_or_b64 exec, exec, s[38:39]
	s_sub_u32 s22, s22, s24
	s_subb_u32 s23, s23, s25
	s_add_u32 s20, s20, s24
	s_addc_u32 s21, s21, s25
	s_cmp_lg_u64 s[22:23], 0
	s_cbranch_scc0 .LBB2_720
.LBB2_639:                              ;   Parent Loop BB2_445 Depth=1
                                        ; =>  This Loop Header: Depth=2
                                        ;       Child Loop BB2_642 Depth 3
                                        ;       Child Loop BB2_649 Depth 3
                                        ;       Child Loop BB2_657 Depth 3
                                        ;       Child Loop BB2_665 Depth 3
                                        ;       Child Loop BB2_673 Depth 3
                                        ;       Child Loop BB2_681 Depth 3
                                        ;       Child Loop BB2_689 Depth 3
                                        ;       Child Loop BB2_697 Depth 3
                                        ;       Child Loop BB2_705 Depth 3
                                        ;       Child Loop BB2_714 Depth 3
                                        ;       Child Loop BB2_719 Depth 3
	v_cmp_lt_u64_e64 s[4:5], s[22:23], 56
	s_and_b64 s[4:5], s[4:5], exec
	v_cmp_gt_u64_e64 s[4:5], s[22:23], 7
	s_cselect_b32 s25, s23, 0
	s_cselect_b32 s24, s22, 56
	s_and_b64 vcc, exec, s[4:5]
	s_cbranch_vccnz .LBB2_644
; %bb.640:                              ;   in Loop: Header=BB2_639 Depth=2
	s_mov_b64 s[4:5], 0
	s_cmp_eq_u64 s[22:23], 0
	s_waitcnt vmcnt(0)
	v_pk_mov_b32 v[20:21], 0, 0
	s_cbranch_scc1 .LBB2_643
; %bb.641:                              ;   in Loop: Header=BB2_639 Depth=2
	s_lshl_b64 s[36:37], s[24:25], 3
	s_mov_b64 s[38:39], 0
	v_pk_mov_b32 v[20:21], 0, 0
	s_mov_b64 s[40:41], s[20:21]
.LBB2_642:                              ;   Parent Loop BB2_445 Depth=1
                                        ;     Parent Loop BB2_639 Depth=2
                                        ; =>    This Inner Loop Header: Depth=3
	global_load_ubyte v2, v3, s[40:41]
	s_waitcnt vmcnt(0)
	v_and_b32_e32 v2, 0xffff, v2
	v_lshlrev_b64 v[6:7], s38, v[2:3]
	s_add_u32 s38, s38, 8
	s_addc_u32 s39, s39, 0
	s_add_u32 s40, s40, 1
	s_addc_u32 s41, s41, 0
	v_or_b32_e32 v20, v6, v20
	s_cmp_lg_u32 s36, s38
	v_or_b32_e32 v21, v7, v21
	s_cbranch_scc1 .LBB2_642
.LBB2_643:                              ;   in Loop: Header=BB2_639 Depth=2
	s_mov_b32 s40, 0
	s_andn2_b64 vcc, exec, s[4:5]
	s_mov_b64 s[4:5], s[20:21]
	s_cbranch_vccz .LBB2_645
	s_branch .LBB2_646
.LBB2_644:                              ;   in Loop: Header=BB2_639 Depth=2
                                        ; implicit-def: $vgpr20_vgpr21
                                        ; implicit-def: $sgpr40
	s_mov_b64 s[4:5], s[20:21]
.LBB2_645:                              ;   in Loop: Header=BB2_639 Depth=2
	global_load_dwordx2 v[20:21], v3, s[20:21]
	s_add_i32 s40, s24, -8
	s_add_u32 s4, s20, 8
	s_addc_u32 s5, s21, 0
.LBB2_646:                              ;   in Loop: Header=BB2_639 Depth=2
	s_cmp_gt_u32 s40, 7
	s_cbranch_scc1 .LBB2_650
; %bb.647:                              ;   in Loop: Header=BB2_639 Depth=2
	s_cmp_eq_u32 s40, 0
	s_cbranch_scc1 .LBB2_651
; %bb.648:                              ;   in Loop: Header=BB2_639 Depth=2
	s_mov_b64 s[36:37], 0
	v_pk_mov_b32 v[22:23], 0, 0
	s_mov_b64 s[38:39], 0
.LBB2_649:                              ;   Parent Loop BB2_445 Depth=1
                                        ;     Parent Loop BB2_639 Depth=2
                                        ; =>    This Inner Loop Header: Depth=3
	s_add_u32 s42, s4, s38
	s_addc_u32 s43, s5, s39
	global_load_ubyte v2, v3, s[42:43]
	s_add_u32 s38, s38, 1
	s_addc_u32 s39, s39, 0
	s_waitcnt vmcnt(0)
	v_and_b32_e32 v2, 0xffff, v2
	v_lshlrev_b64 v[6:7], s36, v[2:3]
	s_add_u32 s36, s36, 8
	s_addc_u32 s37, s37, 0
	v_or_b32_e32 v22, v6, v22
	s_cmp_lg_u32 s40, s38
	v_or_b32_e32 v23, v7, v23
	s_cbranch_scc1 .LBB2_649
	s_branch .LBB2_652
.LBB2_650:                              ;   in Loop: Header=BB2_639 Depth=2
                                        ; implicit-def: $vgpr22_vgpr23
                                        ; implicit-def: $sgpr41
	s_branch .LBB2_653
.LBB2_651:                              ;   in Loop: Header=BB2_639 Depth=2
	v_pk_mov_b32 v[22:23], 0, 0
.LBB2_652:                              ;   in Loop: Header=BB2_639 Depth=2
	s_mov_b32 s41, 0
	s_cbranch_execnz .LBB2_654
.LBB2_653:                              ;   in Loop: Header=BB2_639 Depth=2
	global_load_dwordx2 v[22:23], v3, s[4:5]
	s_add_i32 s41, s40, -8
	s_add_u32 s4, s4, 8
	s_addc_u32 s5, s5, 0
.LBB2_654:                              ;   in Loop: Header=BB2_639 Depth=2
	s_cmp_gt_u32 s41, 7
	s_cbranch_scc1 .LBB2_658
; %bb.655:                              ;   in Loop: Header=BB2_639 Depth=2
	s_cmp_eq_u32 s41, 0
	s_cbranch_scc1 .LBB2_659
; %bb.656:                              ;   in Loop: Header=BB2_639 Depth=2
	s_mov_b64 s[36:37], 0
	v_pk_mov_b32 v[24:25], 0, 0
	s_mov_b64 s[38:39], 0
.LBB2_657:                              ;   Parent Loop BB2_445 Depth=1
                                        ;     Parent Loop BB2_639 Depth=2
                                        ; =>    This Inner Loop Header: Depth=3
	s_add_u32 s42, s4, s38
	s_addc_u32 s43, s5, s39
	global_load_ubyte v2, v3, s[42:43]
	s_add_u32 s38, s38, 1
	s_addc_u32 s39, s39, 0
	s_waitcnt vmcnt(0)
	v_and_b32_e32 v2, 0xffff, v2
	v_lshlrev_b64 v[6:7], s36, v[2:3]
	s_add_u32 s36, s36, 8
	s_addc_u32 s37, s37, 0
	v_or_b32_e32 v24, v6, v24
	s_cmp_lg_u32 s41, s38
	v_or_b32_e32 v25, v7, v25
	s_cbranch_scc1 .LBB2_657
	s_branch .LBB2_660
.LBB2_658:                              ;   in Loop: Header=BB2_639 Depth=2
                                        ; implicit-def: $sgpr40
	s_branch .LBB2_661
.LBB2_659:                              ;   in Loop: Header=BB2_639 Depth=2
	v_pk_mov_b32 v[24:25], 0, 0
.LBB2_660:                              ;   in Loop: Header=BB2_639 Depth=2
	s_mov_b32 s40, 0
	s_cbranch_execnz .LBB2_662
.LBB2_661:                              ;   in Loop: Header=BB2_639 Depth=2
	global_load_dwordx2 v[24:25], v3, s[4:5]
	s_add_i32 s40, s41, -8
	s_add_u32 s4, s4, 8
	s_addc_u32 s5, s5, 0
.LBB2_662:                              ;   in Loop: Header=BB2_639 Depth=2
	s_cmp_gt_u32 s40, 7
	s_cbranch_scc1 .LBB2_666
; %bb.663:                              ;   in Loop: Header=BB2_639 Depth=2
	s_cmp_eq_u32 s40, 0
	s_cbranch_scc1 .LBB2_667
; %bb.664:                              ;   in Loop: Header=BB2_639 Depth=2
	s_mov_b64 s[36:37], 0
	v_pk_mov_b32 v[26:27], 0, 0
	s_mov_b64 s[38:39], 0
.LBB2_665:                              ;   Parent Loop BB2_445 Depth=1
                                        ;     Parent Loop BB2_639 Depth=2
                                        ; =>    This Inner Loop Header: Depth=3
	s_add_u32 s42, s4, s38
	s_addc_u32 s43, s5, s39
	global_load_ubyte v2, v3, s[42:43]
	s_add_u32 s38, s38, 1
	s_addc_u32 s39, s39, 0
	s_waitcnt vmcnt(0)
	v_and_b32_e32 v2, 0xffff, v2
	v_lshlrev_b64 v[6:7], s36, v[2:3]
	s_add_u32 s36, s36, 8
	s_addc_u32 s37, s37, 0
	v_or_b32_e32 v26, v6, v26
	s_cmp_lg_u32 s40, s38
	v_or_b32_e32 v27, v7, v27
	s_cbranch_scc1 .LBB2_665
	s_branch .LBB2_668
.LBB2_666:                              ;   in Loop: Header=BB2_639 Depth=2
                                        ; implicit-def: $vgpr26_vgpr27
                                        ; implicit-def: $sgpr41
	s_branch .LBB2_669
.LBB2_667:                              ;   in Loop: Header=BB2_639 Depth=2
	v_pk_mov_b32 v[26:27], 0, 0
.LBB2_668:                              ;   in Loop: Header=BB2_639 Depth=2
	s_mov_b32 s41, 0
	s_cbranch_execnz .LBB2_670
.LBB2_669:                              ;   in Loop: Header=BB2_639 Depth=2
	global_load_dwordx2 v[26:27], v3, s[4:5]
	s_add_i32 s41, s40, -8
	s_add_u32 s4, s4, 8
	s_addc_u32 s5, s5, 0
.LBB2_670:                              ;   in Loop: Header=BB2_639 Depth=2
	s_cmp_gt_u32 s41, 7
	s_cbranch_scc1 .LBB2_674
; %bb.671:                              ;   in Loop: Header=BB2_639 Depth=2
	s_cmp_eq_u32 s41, 0
	s_cbranch_scc1 .LBB2_675
; %bb.672:                              ;   in Loop: Header=BB2_639 Depth=2
	s_mov_b64 s[36:37], 0
	v_pk_mov_b32 v[28:29], 0, 0
	s_mov_b64 s[38:39], 0
.LBB2_673:                              ;   Parent Loop BB2_445 Depth=1
                                        ;     Parent Loop BB2_639 Depth=2
                                        ; =>    This Inner Loop Header: Depth=3
	s_add_u32 s42, s4, s38
	s_addc_u32 s43, s5, s39
	global_load_ubyte v2, v3, s[42:43]
	s_add_u32 s38, s38, 1
	s_addc_u32 s39, s39, 0
	s_waitcnt vmcnt(0)
	v_and_b32_e32 v2, 0xffff, v2
	v_lshlrev_b64 v[6:7], s36, v[2:3]
	s_add_u32 s36, s36, 8
	s_addc_u32 s37, s37, 0
	v_or_b32_e32 v28, v6, v28
	s_cmp_lg_u32 s41, s38
	v_or_b32_e32 v29, v7, v29
	s_cbranch_scc1 .LBB2_673
	s_branch .LBB2_676
.LBB2_674:                              ;   in Loop: Header=BB2_639 Depth=2
                                        ; implicit-def: $sgpr40
	s_branch .LBB2_677
.LBB2_675:                              ;   in Loop: Header=BB2_639 Depth=2
	v_pk_mov_b32 v[28:29], 0, 0
.LBB2_676:                              ;   in Loop: Header=BB2_639 Depth=2
	s_mov_b32 s40, 0
	s_cbranch_execnz .LBB2_678
.LBB2_677:                              ;   in Loop: Header=BB2_639 Depth=2
	global_load_dwordx2 v[28:29], v3, s[4:5]
	s_add_i32 s40, s41, -8
	s_add_u32 s4, s4, 8
	s_addc_u32 s5, s5, 0
.LBB2_678:                              ;   in Loop: Header=BB2_639 Depth=2
	s_cmp_gt_u32 s40, 7
	s_cbranch_scc1 .LBB2_682
; %bb.679:                              ;   in Loop: Header=BB2_639 Depth=2
	s_cmp_eq_u32 s40, 0
	s_cbranch_scc1 .LBB2_683
; %bb.680:                              ;   in Loop: Header=BB2_639 Depth=2
	s_mov_b64 s[36:37], 0
	v_pk_mov_b32 v[30:31], 0, 0
	s_mov_b64 s[38:39], 0
.LBB2_681:                              ;   Parent Loop BB2_445 Depth=1
                                        ;     Parent Loop BB2_639 Depth=2
                                        ; =>    This Inner Loop Header: Depth=3
	s_add_u32 s42, s4, s38
	s_addc_u32 s43, s5, s39
	global_load_ubyte v2, v3, s[42:43]
	s_add_u32 s38, s38, 1
	s_addc_u32 s39, s39, 0
	s_waitcnt vmcnt(0)
	v_and_b32_e32 v2, 0xffff, v2
	v_lshlrev_b64 v[6:7], s36, v[2:3]
	s_add_u32 s36, s36, 8
	s_addc_u32 s37, s37, 0
	v_or_b32_e32 v30, v6, v30
	s_cmp_lg_u32 s40, s38
	v_or_b32_e32 v31, v7, v31
	s_cbranch_scc1 .LBB2_681
	s_branch .LBB2_684
.LBB2_682:                              ;   in Loop: Header=BB2_639 Depth=2
                                        ; implicit-def: $vgpr30_vgpr31
                                        ; implicit-def: $sgpr41
	s_branch .LBB2_685
.LBB2_683:                              ;   in Loop: Header=BB2_639 Depth=2
	v_pk_mov_b32 v[30:31], 0, 0
.LBB2_684:                              ;   in Loop: Header=BB2_639 Depth=2
	s_mov_b32 s41, 0
	s_cbranch_execnz .LBB2_686
.LBB2_685:                              ;   in Loop: Header=BB2_639 Depth=2
	global_load_dwordx2 v[30:31], v3, s[4:5]
	s_add_i32 s41, s40, -8
	s_add_u32 s4, s4, 8
	s_addc_u32 s5, s5, 0
.LBB2_686:                              ;   in Loop: Header=BB2_639 Depth=2
	s_cmp_gt_u32 s41, 7
	s_cbranch_scc1 .LBB2_690
; %bb.687:                              ;   in Loop: Header=BB2_639 Depth=2
	s_cmp_eq_u32 s41, 0
	s_cbranch_scc1 .LBB2_691
; %bb.688:                              ;   in Loop: Header=BB2_639 Depth=2
	s_mov_b64 s[36:37], 0
	v_pk_mov_b32 v[32:33], 0, 0
	s_mov_b64 s[38:39], s[4:5]
.LBB2_689:                              ;   Parent Loop BB2_445 Depth=1
                                        ;     Parent Loop BB2_639 Depth=2
                                        ; =>    This Inner Loop Header: Depth=3
	global_load_ubyte v2, v3, s[38:39]
	s_add_i32 s41, s41, -1
	s_waitcnt vmcnt(0)
	v_and_b32_e32 v2, 0xffff, v2
	v_lshlrev_b64 v[6:7], s36, v[2:3]
	s_add_u32 s36, s36, 8
	s_addc_u32 s37, s37, 0
	s_add_u32 s38, s38, 1
	s_addc_u32 s39, s39, 0
	v_or_b32_e32 v32, v6, v32
	s_cmp_lg_u32 s41, 0
	v_or_b32_e32 v33, v7, v33
	s_cbranch_scc1 .LBB2_689
	s_branch .LBB2_692
.LBB2_690:                              ;   in Loop: Header=BB2_639 Depth=2
	s_branch .LBB2_693
.LBB2_691:                              ;   in Loop: Header=BB2_639 Depth=2
	v_pk_mov_b32 v[32:33], 0, 0
.LBB2_692:                              ;   in Loop: Header=BB2_639 Depth=2
	s_cbranch_execnz .LBB2_694
.LBB2_693:                              ;   in Loop: Header=BB2_639 Depth=2
	global_load_dwordx2 v[32:33], v3, s[4:5]
.LBB2_694:                              ;   in Loop: Header=BB2_639 Depth=2
	v_readfirstlane_b32 s4, v43
	v_cmp_eq_u32_e64 s[4:5], s4, v43
	v_pk_mov_b32 v[6:7], 0, 0
	s_and_saveexec_b64 s[36:37], s[4:5]
	s_cbranch_execz .LBB2_700
; %bb.695:                              ;   in Loop: Header=BB2_639 Depth=2
	global_load_dwordx2 v[36:37], v3, s[34:35] offset:24 glc
	s_waitcnt vmcnt(0)
	buffer_invl2
	buffer_wbinvl1_vol
	global_load_dwordx2 v[6:7], v3, s[34:35] offset:40
	global_load_dwordx2 v[34:35], v3, s[34:35]
	s_waitcnt vmcnt(1)
	v_and_b32_e32 v2, v6, v36
	v_and_b32_e32 v5, v7, v37
	v_mul_lo_u32 v5, v5, 24
	v_mul_hi_u32 v6, v2, 24
	v_mul_lo_u32 v2, v2, 24
	v_add_u32_e32 v5, v6, v5
	s_waitcnt vmcnt(0)
	v_add_co_u32_e32 v6, vcc, v34, v2
	v_addc_co_u32_e32 v7, vcc, v35, v5, vcc
	global_load_dwordx2 v[34:35], v[6:7], off glc
	s_waitcnt vmcnt(0)
	global_atomic_cmpswap_x2 v[6:7], v3, v[34:37], s[34:35] offset:24 glc
	s_waitcnt vmcnt(0)
	buffer_invl2
	buffer_wbinvl1_vol
	v_cmp_ne_u64_e32 vcc, v[6:7], v[36:37]
	s_and_saveexec_b64 s[38:39], vcc
	s_cbranch_execz .LBB2_699
; %bb.696:                              ;   in Loop: Header=BB2_639 Depth=2
	s_mov_b64 s[40:41], 0
.LBB2_697:                              ;   Parent Loop BB2_445 Depth=1
                                        ;     Parent Loop BB2_639 Depth=2
                                        ; =>    This Inner Loop Header: Depth=3
	s_sleep 1
	global_load_dwordx2 v[34:35], v3, s[34:35] offset:40
	global_load_dwordx2 v[40:41], v3, s[34:35]
	v_pk_mov_b32 v[36:37], v[6:7], v[6:7] op_sel:[0,1]
	s_waitcnt vmcnt(1)
	v_and_b32_e32 v2, v34, v36
	s_waitcnt vmcnt(0)
	v_mad_u64_u32 v[6:7], s[42:43], v2, 24, v[40:41]
	v_and_b32_e32 v5, v35, v37
	v_mov_b32_e32 v2, v7
	v_mad_u64_u32 v[34:35], s[42:43], v5, 24, v[2:3]
	v_mov_b32_e32 v7, v34
	global_load_dwordx2 v[34:35], v[6:7], off glc
	s_waitcnt vmcnt(0)
	global_atomic_cmpswap_x2 v[6:7], v3, v[34:37], s[34:35] offset:24 glc
	s_waitcnt vmcnt(0)
	buffer_invl2
	buffer_wbinvl1_vol
	v_cmp_eq_u64_e32 vcc, v[6:7], v[36:37]
	s_or_b64 s[40:41], vcc, s[40:41]
	s_andn2_b64 exec, exec, s[40:41]
	s_cbranch_execnz .LBB2_697
; %bb.698:                              ;   in Loop: Header=BB2_639 Depth=2
	s_or_b64 exec, exec, s[40:41]
.LBB2_699:                              ;   in Loop: Header=BB2_639 Depth=2
	s_or_b64 exec, exec, s[38:39]
.LBB2_700:                              ;   in Loop: Header=BB2_639 Depth=2
	s_or_b64 exec, exec, s[36:37]
	global_load_dwordx2 v[40:41], v3, s[34:35] offset:40
	global_load_dwordx4 v[34:37], v3, s[34:35]
	v_readfirstlane_b32 s36, v6
	v_readfirstlane_b32 s37, v7
	s_mov_b64 s[38:39], exec
	s_waitcnt vmcnt(1)
	v_readfirstlane_b32 s40, v40
	v_readfirstlane_b32 s41, v41
	s_and_b64 s[40:41], s[36:37], s[40:41]
	s_mul_i32 s42, s41, 24
	s_mul_hi_u32 s43, s40, 24
	s_mul_i32 s49, s40, 24
	s_add_i32 s42, s43, s42
	v_mov_b32_e32 v2, s42
	s_waitcnt vmcnt(0)
	v_add_co_u32_e32 v40, vcc, s49, v34
	v_addc_co_u32_e32 v41, vcc, v35, v2, vcc
	s_and_saveexec_b64 s[42:43], s[4:5]
	s_cbranch_execz .LBB2_702
; %bb.701:                              ;   in Loop: Header=BB2_639 Depth=2
	v_pk_mov_b32 v[6:7], s[38:39], s[38:39] op_sel:[0,1]
	global_store_dwordx4 v[40:41], v[6:9], off offset:8
.LBB2_702:                              ;   in Loop: Header=BB2_639 Depth=2
	s_or_b64 exec, exec, s[42:43]
	s_lshl_b64 s[38:39], s[40:41], 12
	v_mov_b32_e32 v2, s39
	v_add_co_u32_e32 v6, vcc, s38, v36
	v_addc_co_u32_e32 v5, vcc, v37, v2, vcc
	v_or_b32_e32 v2, 0, v19
	v_or_b32_e32 v7, v18, v38
	v_cmp_gt_u64_e64 vcc, s[22:23], 56
	s_lshl_b32 s38, s24, 2
	v_cndmask_b32_e32 v19, v2, v19, vcc
	v_cndmask_b32_e32 v2, v7, v18, vcc
	s_add_i32 s38, s38, 28
	s_and_b32 s38, s38, 0x1e0
	v_and_b32_e32 v2, 0xffffff1f, v2
	v_or_b32_e32 v18, s38, v2
	v_readfirstlane_b32 s38, v6
	v_readfirstlane_b32 s39, v5
	s_nop 4
	global_store_dwordx4 v42, v[18:21], s[38:39]
	global_store_dwordx4 v42, v[22:25], s[38:39] offset:16
	global_store_dwordx4 v42, v[26:29], s[38:39] offset:32
	;; [unrolled: 1-line block ×3, first 2 shown]
	s_and_saveexec_b64 s[38:39], s[4:5]
	s_cbranch_execz .LBB2_710
; %bb.703:                              ;   in Loop: Header=BB2_639 Depth=2
	global_load_dwordx2 v[26:27], v3, s[34:35] offset:32 glc
	global_load_dwordx2 v[18:19], v3, s[34:35] offset:40
	v_mov_b32_e32 v24, s36
	v_mov_b32_e32 v25, s37
	s_waitcnt vmcnt(0)
	v_readfirstlane_b32 s40, v18
	v_readfirstlane_b32 s41, v19
	s_and_b64 s[40:41], s[40:41], s[36:37]
	s_mul_i32 s41, s41, 24
	s_mul_hi_u32 s42, s40, 24
	s_mul_i32 s40, s40, 24
	s_add_i32 s41, s42, s41
	v_mov_b32_e32 v2, s41
	v_add_co_u32_e32 v22, vcc, s40, v34
	v_addc_co_u32_e32 v23, vcc, v35, v2, vcc
	global_store_dwordx2 v[22:23], v[26:27], off
	buffer_wbl2
	s_waitcnt vmcnt(0)
	global_atomic_cmpswap_x2 v[20:21], v3, v[24:27], s[34:35] offset:32 glc
	s_waitcnt vmcnt(0)
	v_cmp_ne_u64_e32 vcc, v[20:21], v[26:27]
	s_and_saveexec_b64 s[40:41], vcc
	s_cbranch_execz .LBB2_706
; %bb.704:                              ;   in Loop: Header=BB2_639 Depth=2
	s_mov_b64 s[42:43], 0
.LBB2_705:                              ;   Parent Loop BB2_445 Depth=1
                                        ;     Parent Loop BB2_639 Depth=2
                                        ; =>    This Inner Loop Header: Depth=3
	s_sleep 1
	global_store_dwordx2 v[22:23], v[20:21], off
	v_mov_b32_e32 v18, s36
	v_mov_b32_e32 v19, s37
	buffer_wbl2
	s_waitcnt vmcnt(0)
	global_atomic_cmpswap_x2 v[18:19], v3, v[18:21], s[34:35] offset:32 glc
	s_waitcnt vmcnt(0)
	v_cmp_eq_u64_e32 vcc, v[18:19], v[20:21]
	s_or_b64 s[42:43], vcc, s[42:43]
	v_pk_mov_b32 v[20:21], v[18:19], v[18:19] op_sel:[0,1]
	s_andn2_b64 exec, exec, s[42:43]
	s_cbranch_execnz .LBB2_705
.LBB2_706:                              ;   in Loop: Header=BB2_639 Depth=2
	s_or_b64 exec, exec, s[40:41]
	global_load_dwordx2 v[18:19], v3, s[34:35] offset:16
	s_mov_b64 s[42:43], exec
	v_mbcnt_lo_u32_b32 v2, s42, 0
	v_mbcnt_hi_u32_b32 v2, s43, v2
	v_cmp_eq_u32_e32 vcc, 0, v2
	s_and_saveexec_b64 s[40:41], vcc
	s_cbranch_execz .LBB2_708
; %bb.707:                              ;   in Loop: Header=BB2_639 Depth=2
	s_bcnt1_i32_b64 s42, s[42:43]
	v_mov_b32_e32 v2, s42
	buffer_wbl2
	s_waitcnt vmcnt(0)
	global_atomic_add_x2 v[18:19], v[2:3], off offset:8
.LBB2_708:                              ;   in Loop: Header=BB2_639 Depth=2
	s_or_b64 exec, exec, s[40:41]
	s_waitcnt vmcnt(0)
	global_load_dwordx2 v[20:21], v[18:19], off offset:16
	s_waitcnt vmcnt(0)
	v_cmp_eq_u64_e32 vcc, 0, v[20:21]
	s_cbranch_vccnz .LBB2_710
; %bb.709:                              ;   in Loop: Header=BB2_639 Depth=2
	global_load_dword v2, v[18:19], off offset:24
	buffer_wbl2
	s_waitcnt vmcnt(0)
	global_store_dwordx2 v[20:21], v[2:3], off
	v_and_b32_e32 v2, 0xffffff, v2
	v_readfirstlane_b32 m0, v2
	s_sendmsg sendmsg(MSG_INTERRUPT)
.LBB2_710:                              ;   in Loop: Header=BB2_639 Depth=2
	s_or_b64 exec, exec, s[38:39]
	v_add_co_u32_e32 v6, vcc, v6, v42
	v_addc_co_u32_e32 v7, vcc, 0, v5, vcc
	s_branch .LBB2_714
.LBB2_711:                              ;   in Loop: Header=BB2_714 Depth=3
	s_or_b64 exec, exec, s[38:39]
	v_readfirstlane_b32 s38, v2
	s_cmp_eq_u32 s38, 0
	s_cbranch_scc1 .LBB2_713
; %bb.712:                              ;   in Loop: Header=BB2_714 Depth=3
	s_sleep 1
	s_cbranch_execnz .LBB2_714
	s_branch .LBB2_716
.LBB2_713:                              ;   in Loop: Header=BB2_639 Depth=2
	s_branch .LBB2_716
.LBB2_714:                              ;   Parent Loop BB2_445 Depth=1
                                        ;     Parent Loop BB2_639 Depth=2
                                        ; =>    This Inner Loop Header: Depth=3
	v_mov_b32_e32 v2, 1
	s_and_saveexec_b64 s[38:39], s[4:5]
	s_cbranch_execz .LBB2_711
; %bb.715:                              ;   in Loop: Header=BB2_714 Depth=3
	global_load_dword v2, v[40:41], off offset:20 glc
	s_waitcnt vmcnt(0)
	buffer_invl2
	buffer_wbinvl1_vol
	v_and_b32_e32 v2, 1, v2
	s_branch .LBB2_711
.LBB2_716:                              ;   in Loop: Header=BB2_639 Depth=2
	global_load_dwordx4 v[18:21], v[6:7], off
	s_and_saveexec_b64 s[38:39], s[4:5]
	s_cbranch_execz .LBB2_638
; %bb.717:                              ;   in Loop: Header=BB2_639 Depth=2
	global_load_dwordx2 v[6:7], v3, s[34:35] offset:40
	global_load_dwordx2 v[24:25], v3, s[34:35] offset:24 glc
	global_load_dwordx2 v[26:27], v3, s[34:35]
	v_mov_b32_e32 v2, s37
	s_waitcnt vmcnt(2)
	v_add_co_u32_e32 v5, vcc, 1, v6
	v_addc_co_u32_e32 v23, vcc, 0, v7, vcc
	v_add_co_u32_e32 v20, vcc, s36, v5
	v_addc_co_u32_e32 v21, vcc, v23, v2, vcc
	v_cmp_eq_u64_e32 vcc, 0, v[20:21]
	v_cndmask_b32_e32 v21, v21, v23, vcc
	v_cndmask_b32_e32 v20, v20, v5, vcc
	v_and_b32_e32 v2, v21, v7
	v_and_b32_e32 v5, v20, v6
	v_mul_lo_u32 v2, v2, 24
	v_mul_hi_u32 v6, v5, 24
	v_mul_lo_u32 v5, v5, 24
	v_add_u32_e32 v2, v6, v2
	s_waitcnt vmcnt(0)
	v_add_co_u32_e32 v6, vcc, v26, v5
	v_addc_co_u32_e32 v7, vcc, v27, v2, vcc
	v_mov_b32_e32 v22, v24
	global_store_dwordx2 v[6:7], v[24:25], off
	v_mov_b32_e32 v23, v25
	buffer_wbl2
	s_waitcnt vmcnt(0)
	global_atomic_cmpswap_x2 v[22:23], v3, v[20:23], s[34:35] offset:24 glc
	s_waitcnt vmcnt(0)
	v_cmp_ne_u64_e32 vcc, v[22:23], v[24:25]
	s_and_b64 exec, exec, vcc
	s_cbranch_execz .LBB2_638
; %bb.718:                              ;   in Loop: Header=BB2_639 Depth=2
	s_mov_b64 s[4:5], 0
.LBB2_719:                              ;   Parent Loop BB2_445 Depth=1
                                        ;     Parent Loop BB2_639 Depth=2
                                        ; =>    This Inner Loop Header: Depth=3
	s_sleep 1
	global_store_dwordx2 v[6:7], v[22:23], off
	buffer_wbl2
	s_waitcnt vmcnt(0)
	global_atomic_cmpswap_x2 v[24:25], v3, v[20:23], s[34:35] offset:24 glc
	s_waitcnt vmcnt(0)
	v_cmp_eq_u64_e32 vcc, v[24:25], v[22:23]
	s_or_b64 s[4:5], vcc, s[4:5]
	v_pk_mov_b32 v[22:23], v[24:25], v[24:25] op_sel:[0,1]
	s_andn2_b64 exec, exec, s[4:5]
	s_cbranch_execnz .LBB2_719
	s_branch .LBB2_638
.LBB2_720:                              ;   in Loop: Header=BB2_445 Depth=1
	s_branch .LBB2_749
.LBB2_721:                              ;   in Loop: Header=BB2_445 Depth=1
                                        ; implicit-def: $vgpr18_vgpr19
	s_cbranch_execz .LBB2_749
; %bb.722:                              ;   in Loop: Header=BB2_445 Depth=1
	v_readfirstlane_b32 s4, v43
	v_cmp_eq_u32_e64 s[4:5], s4, v43
	v_pk_mov_b32 v[6:7], 0, 0
	s_and_saveexec_b64 s[20:21], s[4:5]
	s_cbranch_execz .LBB2_728
; %bb.723:                              ;   in Loop: Header=BB2_445 Depth=1
	global_load_dwordx2 v[20:21], v3, s[34:35] offset:24 glc
	s_waitcnt vmcnt(0)
	buffer_invl2
	buffer_wbinvl1_vol
	global_load_dwordx2 v[6:7], v3, s[34:35] offset:40
	global_load_dwordx2 v[18:19], v3, s[34:35]
	s_waitcnt vmcnt(1)
	v_and_b32_e32 v2, v6, v20
	v_and_b32_e32 v5, v7, v21
	v_mul_lo_u32 v5, v5, 24
	v_mul_hi_u32 v6, v2, 24
	v_mul_lo_u32 v2, v2, 24
	v_add_u32_e32 v5, v6, v5
	s_waitcnt vmcnt(0)
	v_add_co_u32_e32 v6, vcc, v18, v2
	v_addc_co_u32_e32 v7, vcc, v19, v5, vcc
	global_load_dwordx2 v[18:19], v[6:7], off glc
	s_waitcnt vmcnt(0)
	global_atomic_cmpswap_x2 v[6:7], v3, v[18:21], s[34:35] offset:24 glc
	s_waitcnt vmcnt(0)
	buffer_invl2
	buffer_wbinvl1_vol
	v_cmp_ne_u64_e32 vcc, v[6:7], v[20:21]
	s_and_saveexec_b64 s[22:23], vcc
	s_cbranch_execz .LBB2_727
; %bb.724:                              ;   in Loop: Header=BB2_445 Depth=1
	s_mov_b64 s[24:25], 0
.LBB2_725:                              ;   Parent Loop BB2_445 Depth=1
                                        ; =>  This Inner Loop Header: Depth=2
	s_sleep 1
	global_load_dwordx2 v[18:19], v3, s[34:35] offset:40
	global_load_dwordx2 v[22:23], v3, s[34:35]
	v_pk_mov_b32 v[20:21], v[6:7], v[6:7] op_sel:[0,1]
	s_waitcnt vmcnt(1)
	v_and_b32_e32 v2, v18, v20
	s_waitcnt vmcnt(0)
	v_mad_u64_u32 v[6:7], s[36:37], v2, 24, v[22:23]
	v_and_b32_e32 v5, v19, v21
	v_mov_b32_e32 v2, v7
	v_mad_u64_u32 v[18:19], s[36:37], v5, 24, v[2:3]
	v_mov_b32_e32 v7, v18
	global_load_dwordx2 v[18:19], v[6:7], off glc
	s_waitcnt vmcnt(0)
	global_atomic_cmpswap_x2 v[6:7], v3, v[18:21], s[34:35] offset:24 glc
	s_waitcnt vmcnt(0)
	buffer_invl2
	buffer_wbinvl1_vol
	v_cmp_eq_u64_e32 vcc, v[6:7], v[20:21]
	s_or_b64 s[24:25], vcc, s[24:25]
	s_andn2_b64 exec, exec, s[24:25]
	s_cbranch_execnz .LBB2_725
; %bb.726:                              ;   in Loop: Header=BB2_445 Depth=1
	s_or_b64 exec, exec, s[24:25]
.LBB2_727:                              ;   in Loop: Header=BB2_445 Depth=1
	s_or_b64 exec, exec, s[22:23]
.LBB2_728:                              ;   in Loop: Header=BB2_445 Depth=1
	s_or_b64 exec, exec, s[20:21]
	global_load_dwordx2 v[22:23], v3, s[34:35] offset:40
	global_load_dwordx4 v[18:21], v3, s[34:35]
	v_readfirstlane_b32 s20, v6
	v_readfirstlane_b32 s21, v7
	s_mov_b64 s[22:23], exec
	s_waitcnt vmcnt(1)
	v_readfirstlane_b32 s24, v22
	v_readfirstlane_b32 s25, v23
	s_and_b64 s[24:25], s[20:21], s[24:25]
	s_mul_i32 s36, s25, 24
	s_mul_hi_u32 s37, s24, 24
	s_mul_i32 s38, s24, 24
	s_add_i32 s36, s37, s36
	v_mov_b32_e32 v2, s36
	s_waitcnt vmcnt(0)
	v_add_co_u32_e32 v22, vcc, s38, v18
	v_addc_co_u32_e32 v23, vcc, v19, v2, vcc
	s_and_saveexec_b64 s[36:37], s[4:5]
	s_cbranch_execz .LBB2_730
; %bb.729:                              ;   in Loop: Header=BB2_445 Depth=1
	v_pk_mov_b32 v[6:7], s[22:23], s[22:23] op_sel:[0,1]
	global_store_dwordx4 v[22:23], v[6:9], off offset:8
.LBB2_730:                              ;   in Loop: Header=BB2_445 Depth=1
	s_or_b64 exec, exec, s[36:37]
	s_lshl_b64 s[22:23], s[24:25], 12
	v_mov_b32_e32 v2, s23
	v_add_co_u32_e32 v6, vcc, s22, v20
	v_addc_co_u32_e32 v5, vcc, v21, v2, vcc
	v_pk_mov_b32 v[26:27], s[10:11], s[10:11] op_sel:[0,1]
	v_and_or_b32 v0, v0, s47, 32
	v_mov_b32_e32 v2, v3
	v_readfirstlane_b32 s22, v6
	v_readfirstlane_b32 s23, v5
	v_pk_mov_b32 v[24:25], s[8:9], s[8:9] op_sel:[0,1]
	s_nop 3
	global_store_dwordx4 v42, v[0:3], s[22:23]
	global_store_dwordx4 v42, v[24:27], s[22:23] offset:16
	global_store_dwordx4 v42, v[24:27], s[22:23] offset:32
	;; [unrolled: 1-line block ×3, first 2 shown]
	s_and_saveexec_b64 s[22:23], s[4:5]
	s_cbranch_execz .LBB2_738
; %bb.731:                              ;   in Loop: Header=BB2_445 Depth=1
	global_load_dwordx2 v[26:27], v3, s[34:35] offset:32 glc
	global_load_dwordx2 v[0:1], v3, s[34:35] offset:40
	v_mov_b32_e32 v24, s20
	v_mov_b32_e32 v25, s21
	s_waitcnt vmcnt(0)
	v_readfirstlane_b32 s24, v0
	v_readfirstlane_b32 s25, v1
	s_and_b64 s[24:25], s[24:25], s[20:21]
	s_mul_i32 s25, s25, 24
	s_mul_hi_u32 s36, s24, 24
	s_mul_i32 s24, s24, 24
	s_add_i32 s25, s36, s25
	v_mov_b32_e32 v1, s25
	v_add_co_u32_e32 v0, vcc, s24, v18
	v_addc_co_u32_e32 v1, vcc, v19, v1, vcc
	global_store_dwordx2 v[0:1], v[26:27], off
	buffer_wbl2
	s_waitcnt vmcnt(0)
	global_atomic_cmpswap_x2 v[20:21], v3, v[24:27], s[34:35] offset:32 glc
	s_waitcnt vmcnt(0)
	v_cmp_ne_u64_e32 vcc, v[20:21], v[26:27]
	s_and_saveexec_b64 s[24:25], vcc
	s_cbranch_execz .LBB2_734
; %bb.732:                              ;   in Loop: Header=BB2_445 Depth=1
	s_mov_b64 s[36:37], 0
.LBB2_733:                              ;   Parent Loop BB2_445 Depth=1
                                        ; =>  This Inner Loop Header: Depth=2
	s_sleep 1
	global_store_dwordx2 v[0:1], v[20:21], off
	v_mov_b32_e32 v18, s20
	v_mov_b32_e32 v19, s21
	buffer_wbl2
	s_waitcnt vmcnt(0)
	global_atomic_cmpswap_x2 v[18:19], v3, v[18:21], s[34:35] offset:32 glc
	s_waitcnt vmcnt(0)
	v_cmp_eq_u64_e32 vcc, v[18:19], v[20:21]
	s_or_b64 s[36:37], vcc, s[36:37]
	v_pk_mov_b32 v[20:21], v[18:19], v[18:19] op_sel:[0,1]
	s_andn2_b64 exec, exec, s[36:37]
	s_cbranch_execnz .LBB2_733
.LBB2_734:                              ;   in Loop: Header=BB2_445 Depth=1
	s_or_b64 exec, exec, s[24:25]
	global_load_dwordx2 v[0:1], v3, s[34:35] offset:16
	s_mov_b64 s[36:37], exec
	v_mbcnt_lo_u32_b32 v2, s36, 0
	v_mbcnt_hi_u32_b32 v2, s37, v2
	v_cmp_eq_u32_e32 vcc, 0, v2
	s_and_saveexec_b64 s[24:25], vcc
	s_cbranch_execz .LBB2_736
; %bb.735:                              ;   in Loop: Header=BB2_445 Depth=1
	s_bcnt1_i32_b64 s36, s[36:37]
	v_mov_b32_e32 v2, s36
	buffer_wbl2
	s_waitcnt vmcnt(0)
	global_atomic_add_x2 v[0:1], v[2:3], off offset:8
.LBB2_736:                              ;   in Loop: Header=BB2_445 Depth=1
	s_or_b64 exec, exec, s[24:25]
	s_waitcnt vmcnt(0)
	global_load_dwordx2 v[18:19], v[0:1], off offset:16
	s_waitcnt vmcnt(0)
	v_cmp_eq_u64_e32 vcc, 0, v[18:19]
	s_cbranch_vccnz .LBB2_738
; %bb.737:                              ;   in Loop: Header=BB2_445 Depth=1
	global_load_dword v2, v[0:1], off offset:24
	s_waitcnt vmcnt(0)
	v_and_b32_e32 v0, 0xffffff, v2
	v_readfirstlane_b32 m0, v0
	buffer_wbl2
	global_store_dwordx2 v[18:19], v[2:3], off
	s_sendmsg sendmsg(MSG_INTERRUPT)
.LBB2_738:                              ;   in Loop: Header=BB2_445 Depth=1
	s_or_b64 exec, exec, s[22:23]
	v_add_co_u32_e32 v0, vcc, v6, v42
	v_addc_co_u32_e32 v1, vcc, 0, v5, vcc
	s_branch .LBB2_742
.LBB2_739:                              ;   in Loop: Header=BB2_742 Depth=2
	s_or_b64 exec, exec, s[22:23]
	v_readfirstlane_b32 s22, v2
	s_cmp_eq_u32 s22, 0
	s_cbranch_scc1 .LBB2_741
; %bb.740:                              ;   in Loop: Header=BB2_742 Depth=2
	s_sleep 1
	s_cbranch_execnz .LBB2_742
	s_branch .LBB2_744
.LBB2_741:                              ;   in Loop: Header=BB2_445 Depth=1
	s_branch .LBB2_744
.LBB2_742:                              ;   Parent Loop BB2_445 Depth=1
                                        ; =>  This Inner Loop Header: Depth=2
	v_mov_b32_e32 v2, 1
	s_and_saveexec_b64 s[22:23], s[4:5]
	s_cbranch_execz .LBB2_739
; %bb.743:                              ;   in Loop: Header=BB2_742 Depth=2
	global_load_dword v2, v[22:23], off offset:20 glc
	s_waitcnt vmcnt(0)
	buffer_invl2
	buffer_wbinvl1_vol
	v_and_b32_e32 v2, 1, v2
	s_branch .LBB2_739
.LBB2_744:                              ;   in Loop: Header=BB2_445 Depth=1
	global_load_dwordx2 v[18:19], v[0:1], off
	s_and_saveexec_b64 s[22:23], s[4:5]
	s_cbranch_execz .LBB2_748
; %bb.745:                              ;   in Loop: Header=BB2_445 Depth=1
	global_load_dwordx2 v[0:1], v3, s[34:35] offset:40
	global_load_dwordx2 v[6:7], v3, s[34:35] offset:24 glc
	global_load_dwordx2 v[24:25], v3, s[34:35]
	v_mov_b32_e32 v2, s21
	s_waitcnt vmcnt(2)
	v_add_co_u32_e32 v5, vcc, 1, v0
	v_addc_co_u32_e32 v23, vcc, 0, v1, vcc
	v_add_co_u32_e32 v20, vcc, s20, v5
	v_addc_co_u32_e32 v21, vcc, v23, v2, vcc
	v_cmp_eq_u64_e32 vcc, 0, v[20:21]
	v_cndmask_b32_e32 v21, v21, v23, vcc
	v_cndmask_b32_e32 v20, v20, v5, vcc
	v_and_b32_e32 v1, v21, v1
	v_and_b32_e32 v0, v20, v0
	v_mul_lo_u32 v1, v1, 24
	v_mul_hi_u32 v2, v0, 24
	v_mul_lo_u32 v0, v0, 24
	v_add_u32_e32 v1, v2, v1
	s_waitcnt vmcnt(0)
	v_add_co_u32_e32 v0, vcc, v24, v0
	v_addc_co_u32_e32 v1, vcc, v25, v1, vcc
	v_mov_b32_e32 v22, v6
	global_store_dwordx2 v[0:1], v[6:7], off
	v_mov_b32_e32 v23, v7
	buffer_wbl2
	s_waitcnt vmcnt(0)
	global_atomic_cmpswap_x2 v[22:23], v3, v[20:23], s[34:35] offset:24 glc
	s_waitcnt vmcnt(0)
	v_cmp_ne_u64_e32 vcc, v[22:23], v[6:7]
	s_and_b64 exec, exec, vcc
	s_cbranch_execz .LBB2_748
; %bb.746:                              ;   in Loop: Header=BB2_445 Depth=1
	s_mov_b64 s[4:5], 0
.LBB2_747:                              ;   Parent Loop BB2_445 Depth=1
                                        ; =>  This Inner Loop Header: Depth=2
	s_sleep 1
	global_store_dwordx2 v[0:1], v[22:23], off
	buffer_wbl2
	s_waitcnt vmcnt(0)
	global_atomic_cmpswap_x2 v[6:7], v3, v[20:23], s[34:35] offset:24 glc
	s_waitcnt vmcnt(0)
	v_cmp_eq_u64_e32 vcc, v[6:7], v[22:23]
	s_or_b64 s[4:5], vcc, s[4:5]
	v_pk_mov_b32 v[22:23], v[6:7], v[6:7] op_sel:[0,1]
	s_andn2_b64 exec, exec, s[4:5]
	s_cbranch_execnz .LBB2_747
.LBB2_748:                              ;   in Loop: Header=BB2_445 Depth=1
	s_or_b64 exec, exec, s[22:23]
.LBB2_749:                              ;   in Loop: Header=BB2_445 Depth=1
	s_and_b32 s22, s29, 1
	s_getpc_b64 s[4:5]
	s_add_u32 s4, s4, .str.4@rel32@lo+4
	s_addc_u32 s5, s5, .str.4@rel32@hi+12
	s_getpc_b64 s[20:21]
	s_add_u32 s20, s20, .str.3@rel32@lo+4
	s_addc_u32 s21, s21, .str.3@rel32@hi+12
	s_cmp_eq_u32 s22, 0
	s_cselect_b32 s21, s5, s21
	s_cselect_b32 s20, s4, s20
	s_cmp_lg_u64 s[20:21], 0
	s_cselect_b64 s[4:5], -1, 0
	s_cmp_eq_u64 s[20:21], 0
	s_mov_b64 s[22:23], 0
	s_cbranch_scc1 .LBB2_753
; %bb.750:                              ;   in Loop: Header=BB2_445 Depth=1
	s_add_u32 s22, s20, -1
	s_addc_u32 s23, s21, -1
.LBB2_751:                              ;   Parent Loop BB2_445 Depth=1
                                        ; =>  This Inner Loop Header: Depth=2
	global_load_ubyte v0, v3, s[22:23] offset:1
	s_add_u32 s24, s22, 1
	s_addc_u32 s25, s23, 0
	s_mov_b64 s[22:23], s[24:25]
	s_waitcnt vmcnt(0)
	v_cmp_ne_u16_e32 vcc, 0, v0
	s_cbranch_vccnz .LBB2_751
; %bb.752:                              ;   in Loop: Header=BB2_445 Depth=1
	s_sub_u32 s22, s24, s20
	s_subb_u32 s23, s25, s21
	s_add_u32 s22, s22, 1
	s_addc_u32 s23, s23, 0
.LBB2_753:                              ;   in Loop: Header=BB2_445 Depth=1
	s_and_b64 vcc, exec, s[4:5]
	s_cbranch_vccz .LBB2_838
; %bb.754:                              ;   in Loop: Header=BB2_445 Depth=1
	s_waitcnt vmcnt(0)
	v_and_b32_e32 v0, 2, v18
	v_and_b32_e32 v20, -3, v18
	v_mov_b32_e32 v21, v19
	s_branch .LBB2_756
.LBB2_755:                              ;   in Loop: Header=BB2_756 Depth=2
	s_or_b64 exec, exec, s[38:39]
	s_sub_u32 s22, s22, s24
	s_subb_u32 s23, s23, s25
	s_add_u32 s20, s20, s24
	s_addc_u32 s21, s21, s25
	s_cmp_lg_u64 s[22:23], 0
	s_cbranch_scc0 .LBB2_837
.LBB2_756:                              ;   Parent Loop BB2_445 Depth=1
                                        ; =>  This Loop Header: Depth=2
                                        ;       Child Loop BB2_759 Depth 3
                                        ;       Child Loop BB2_766 Depth 3
	;; [unrolled: 1-line block ×11, first 2 shown]
	v_cmp_lt_u64_e64 s[4:5], s[22:23], 56
	s_and_b64 s[4:5], s[4:5], exec
	v_cmp_gt_u64_e64 s[4:5], s[22:23], 7
	s_cselect_b32 s25, s23, 0
	s_cselect_b32 s24, s22, 56
	s_and_b64 vcc, exec, s[4:5]
	s_cbranch_vccnz .LBB2_761
; %bb.757:                              ;   in Loop: Header=BB2_756 Depth=2
	s_mov_b64 s[4:5], 0
	s_cmp_eq_u64 s[22:23], 0
	s_waitcnt vmcnt(0)
	v_pk_mov_b32 v[22:23], 0, 0
	s_cbranch_scc1 .LBB2_760
; %bb.758:                              ;   in Loop: Header=BB2_756 Depth=2
	s_lshl_b64 s[36:37], s[24:25], 3
	s_mov_b64 s[38:39], 0
	v_pk_mov_b32 v[22:23], 0, 0
	s_mov_b64 s[40:41], s[20:21]
.LBB2_759:                              ;   Parent Loop BB2_445 Depth=1
                                        ;     Parent Loop BB2_756 Depth=2
                                        ; =>    This Inner Loop Header: Depth=3
	global_load_ubyte v1, v3, s[40:41]
	s_waitcnt vmcnt(0)
	v_and_b32_e32 v2, 0xffff, v1
	v_lshlrev_b64 v[6:7], s38, v[2:3]
	s_add_u32 s38, s38, 8
	s_addc_u32 s39, s39, 0
	s_add_u32 s40, s40, 1
	s_addc_u32 s41, s41, 0
	v_or_b32_e32 v22, v6, v22
	s_cmp_lg_u32 s36, s38
	v_or_b32_e32 v23, v7, v23
	s_cbranch_scc1 .LBB2_759
.LBB2_760:                              ;   in Loop: Header=BB2_756 Depth=2
	s_mov_b32 s40, 0
	s_andn2_b64 vcc, exec, s[4:5]
	s_mov_b64 s[4:5], s[20:21]
	s_cbranch_vccz .LBB2_762
	s_branch .LBB2_763
.LBB2_761:                              ;   in Loop: Header=BB2_756 Depth=2
                                        ; implicit-def: $vgpr22_vgpr23
                                        ; implicit-def: $sgpr40
	s_mov_b64 s[4:5], s[20:21]
.LBB2_762:                              ;   in Loop: Header=BB2_756 Depth=2
	global_load_dwordx2 v[22:23], v3, s[20:21]
	s_add_i32 s40, s24, -8
	s_add_u32 s4, s20, 8
	s_addc_u32 s5, s21, 0
.LBB2_763:                              ;   in Loop: Header=BB2_756 Depth=2
	s_cmp_gt_u32 s40, 7
	s_cbranch_scc1 .LBB2_767
; %bb.764:                              ;   in Loop: Header=BB2_756 Depth=2
	s_cmp_eq_u32 s40, 0
	s_cbranch_scc1 .LBB2_768
; %bb.765:                              ;   in Loop: Header=BB2_756 Depth=2
	s_mov_b64 s[36:37], 0
	v_pk_mov_b32 v[24:25], 0, 0
	s_mov_b64 s[38:39], 0
.LBB2_766:                              ;   Parent Loop BB2_445 Depth=1
                                        ;     Parent Loop BB2_756 Depth=2
                                        ; =>    This Inner Loop Header: Depth=3
	s_add_u32 s42, s4, s38
	s_addc_u32 s43, s5, s39
	global_load_ubyte v1, v3, s[42:43]
	s_add_u32 s38, s38, 1
	s_addc_u32 s39, s39, 0
	s_waitcnt vmcnt(0)
	v_and_b32_e32 v2, 0xffff, v1
	v_lshlrev_b64 v[6:7], s36, v[2:3]
	s_add_u32 s36, s36, 8
	s_addc_u32 s37, s37, 0
	v_or_b32_e32 v24, v6, v24
	s_cmp_lg_u32 s40, s38
	v_or_b32_e32 v25, v7, v25
	s_cbranch_scc1 .LBB2_766
	s_branch .LBB2_769
.LBB2_767:                              ;   in Loop: Header=BB2_756 Depth=2
                                        ; implicit-def: $vgpr24_vgpr25
                                        ; implicit-def: $sgpr41
	s_branch .LBB2_770
.LBB2_768:                              ;   in Loop: Header=BB2_756 Depth=2
	v_pk_mov_b32 v[24:25], 0, 0
.LBB2_769:                              ;   in Loop: Header=BB2_756 Depth=2
	s_mov_b32 s41, 0
	s_cbranch_execnz .LBB2_771
.LBB2_770:                              ;   in Loop: Header=BB2_756 Depth=2
	global_load_dwordx2 v[24:25], v3, s[4:5]
	s_add_i32 s41, s40, -8
	s_add_u32 s4, s4, 8
	s_addc_u32 s5, s5, 0
.LBB2_771:                              ;   in Loop: Header=BB2_756 Depth=2
	s_cmp_gt_u32 s41, 7
	s_cbranch_scc1 .LBB2_775
; %bb.772:                              ;   in Loop: Header=BB2_756 Depth=2
	s_cmp_eq_u32 s41, 0
	s_cbranch_scc1 .LBB2_776
; %bb.773:                              ;   in Loop: Header=BB2_756 Depth=2
	s_mov_b64 s[36:37], 0
	v_pk_mov_b32 v[26:27], 0, 0
	s_mov_b64 s[38:39], 0
.LBB2_774:                              ;   Parent Loop BB2_445 Depth=1
                                        ;     Parent Loop BB2_756 Depth=2
                                        ; =>    This Inner Loop Header: Depth=3
	s_add_u32 s42, s4, s38
	s_addc_u32 s43, s5, s39
	global_load_ubyte v1, v3, s[42:43]
	s_add_u32 s38, s38, 1
	s_addc_u32 s39, s39, 0
	s_waitcnt vmcnt(0)
	v_and_b32_e32 v2, 0xffff, v1
	v_lshlrev_b64 v[6:7], s36, v[2:3]
	s_add_u32 s36, s36, 8
	s_addc_u32 s37, s37, 0
	v_or_b32_e32 v26, v6, v26
	s_cmp_lg_u32 s41, s38
	v_or_b32_e32 v27, v7, v27
	s_cbranch_scc1 .LBB2_774
	s_branch .LBB2_777
.LBB2_775:                              ;   in Loop: Header=BB2_756 Depth=2
                                        ; implicit-def: $sgpr40
	s_branch .LBB2_778
.LBB2_776:                              ;   in Loop: Header=BB2_756 Depth=2
	v_pk_mov_b32 v[26:27], 0, 0
.LBB2_777:                              ;   in Loop: Header=BB2_756 Depth=2
	s_mov_b32 s40, 0
	s_cbranch_execnz .LBB2_779
.LBB2_778:                              ;   in Loop: Header=BB2_756 Depth=2
	global_load_dwordx2 v[26:27], v3, s[4:5]
	s_add_i32 s40, s41, -8
	s_add_u32 s4, s4, 8
	s_addc_u32 s5, s5, 0
.LBB2_779:                              ;   in Loop: Header=BB2_756 Depth=2
	s_cmp_gt_u32 s40, 7
	s_cbranch_scc1 .LBB2_783
; %bb.780:                              ;   in Loop: Header=BB2_756 Depth=2
	s_cmp_eq_u32 s40, 0
	s_cbranch_scc1 .LBB2_784
; %bb.781:                              ;   in Loop: Header=BB2_756 Depth=2
	s_mov_b64 s[36:37], 0
	v_pk_mov_b32 v[28:29], 0, 0
	s_mov_b64 s[38:39], 0
.LBB2_782:                              ;   Parent Loop BB2_445 Depth=1
                                        ;     Parent Loop BB2_756 Depth=2
                                        ; =>    This Inner Loop Header: Depth=3
	s_add_u32 s42, s4, s38
	s_addc_u32 s43, s5, s39
	global_load_ubyte v1, v3, s[42:43]
	s_add_u32 s38, s38, 1
	s_addc_u32 s39, s39, 0
	s_waitcnt vmcnt(0)
	v_and_b32_e32 v2, 0xffff, v1
	v_lshlrev_b64 v[6:7], s36, v[2:3]
	s_add_u32 s36, s36, 8
	s_addc_u32 s37, s37, 0
	v_or_b32_e32 v28, v6, v28
	s_cmp_lg_u32 s40, s38
	v_or_b32_e32 v29, v7, v29
	s_cbranch_scc1 .LBB2_782
	s_branch .LBB2_785
.LBB2_783:                              ;   in Loop: Header=BB2_756 Depth=2
                                        ; implicit-def: $vgpr28_vgpr29
                                        ; implicit-def: $sgpr41
	s_branch .LBB2_786
.LBB2_784:                              ;   in Loop: Header=BB2_756 Depth=2
	v_pk_mov_b32 v[28:29], 0, 0
.LBB2_785:                              ;   in Loop: Header=BB2_756 Depth=2
	s_mov_b32 s41, 0
	s_cbranch_execnz .LBB2_787
.LBB2_786:                              ;   in Loop: Header=BB2_756 Depth=2
	global_load_dwordx2 v[28:29], v3, s[4:5]
	s_add_i32 s41, s40, -8
	s_add_u32 s4, s4, 8
	s_addc_u32 s5, s5, 0
.LBB2_787:                              ;   in Loop: Header=BB2_756 Depth=2
	s_cmp_gt_u32 s41, 7
	s_cbranch_scc1 .LBB2_791
; %bb.788:                              ;   in Loop: Header=BB2_756 Depth=2
	s_cmp_eq_u32 s41, 0
	s_cbranch_scc1 .LBB2_792
; %bb.789:                              ;   in Loop: Header=BB2_756 Depth=2
	s_mov_b64 s[36:37], 0
	v_pk_mov_b32 v[30:31], 0, 0
	s_mov_b64 s[38:39], 0
.LBB2_790:                              ;   Parent Loop BB2_445 Depth=1
                                        ;     Parent Loop BB2_756 Depth=2
                                        ; =>    This Inner Loop Header: Depth=3
	s_add_u32 s42, s4, s38
	s_addc_u32 s43, s5, s39
	global_load_ubyte v1, v3, s[42:43]
	s_add_u32 s38, s38, 1
	s_addc_u32 s39, s39, 0
	s_waitcnt vmcnt(0)
	v_and_b32_e32 v2, 0xffff, v1
	v_lshlrev_b64 v[6:7], s36, v[2:3]
	s_add_u32 s36, s36, 8
	s_addc_u32 s37, s37, 0
	v_or_b32_e32 v30, v6, v30
	s_cmp_lg_u32 s41, s38
	v_or_b32_e32 v31, v7, v31
	s_cbranch_scc1 .LBB2_790
	s_branch .LBB2_793
.LBB2_791:                              ;   in Loop: Header=BB2_756 Depth=2
                                        ; implicit-def: $sgpr40
	s_branch .LBB2_794
.LBB2_792:                              ;   in Loop: Header=BB2_756 Depth=2
	v_pk_mov_b32 v[30:31], 0, 0
.LBB2_793:                              ;   in Loop: Header=BB2_756 Depth=2
	s_mov_b32 s40, 0
	s_cbranch_execnz .LBB2_795
.LBB2_794:                              ;   in Loop: Header=BB2_756 Depth=2
	global_load_dwordx2 v[30:31], v3, s[4:5]
	s_add_i32 s40, s41, -8
	s_add_u32 s4, s4, 8
	s_addc_u32 s5, s5, 0
.LBB2_795:                              ;   in Loop: Header=BB2_756 Depth=2
	s_cmp_gt_u32 s40, 7
	s_cbranch_scc1 .LBB2_799
; %bb.796:                              ;   in Loop: Header=BB2_756 Depth=2
	s_cmp_eq_u32 s40, 0
	s_cbranch_scc1 .LBB2_800
; %bb.797:                              ;   in Loop: Header=BB2_756 Depth=2
	s_mov_b64 s[36:37], 0
	v_pk_mov_b32 v[32:33], 0, 0
	s_mov_b64 s[38:39], 0
.LBB2_798:                              ;   Parent Loop BB2_445 Depth=1
                                        ;     Parent Loop BB2_756 Depth=2
                                        ; =>    This Inner Loop Header: Depth=3
	s_add_u32 s42, s4, s38
	s_addc_u32 s43, s5, s39
	global_load_ubyte v1, v3, s[42:43]
	s_add_u32 s38, s38, 1
	s_addc_u32 s39, s39, 0
	s_waitcnt vmcnt(0)
	v_and_b32_e32 v2, 0xffff, v1
	v_lshlrev_b64 v[6:7], s36, v[2:3]
	s_add_u32 s36, s36, 8
	s_addc_u32 s37, s37, 0
	v_or_b32_e32 v32, v6, v32
	s_cmp_lg_u32 s40, s38
	v_or_b32_e32 v33, v7, v33
	s_cbranch_scc1 .LBB2_798
	s_branch .LBB2_801
.LBB2_799:                              ;   in Loop: Header=BB2_756 Depth=2
                                        ; implicit-def: $vgpr32_vgpr33
                                        ; implicit-def: $sgpr41
	s_branch .LBB2_802
.LBB2_800:                              ;   in Loop: Header=BB2_756 Depth=2
	v_pk_mov_b32 v[32:33], 0, 0
.LBB2_801:                              ;   in Loop: Header=BB2_756 Depth=2
	s_mov_b32 s41, 0
	s_cbranch_execnz .LBB2_803
.LBB2_802:                              ;   in Loop: Header=BB2_756 Depth=2
	global_load_dwordx2 v[32:33], v3, s[4:5]
	s_add_i32 s41, s40, -8
	s_add_u32 s4, s4, 8
	s_addc_u32 s5, s5, 0
.LBB2_803:                              ;   in Loop: Header=BB2_756 Depth=2
	s_cmp_gt_u32 s41, 7
	s_cbranch_scc1 .LBB2_807
; %bb.804:                              ;   in Loop: Header=BB2_756 Depth=2
	s_cmp_eq_u32 s41, 0
	s_cbranch_scc1 .LBB2_808
; %bb.805:                              ;   in Loop: Header=BB2_756 Depth=2
	s_mov_b64 s[36:37], 0
	v_pk_mov_b32 v[34:35], 0, 0
	s_mov_b64 s[38:39], s[4:5]
.LBB2_806:                              ;   Parent Loop BB2_445 Depth=1
                                        ;     Parent Loop BB2_756 Depth=2
                                        ; =>    This Inner Loop Header: Depth=3
	global_load_ubyte v1, v3, s[38:39]
	s_add_i32 s41, s41, -1
	s_waitcnt vmcnt(0)
	v_and_b32_e32 v2, 0xffff, v1
	v_lshlrev_b64 v[6:7], s36, v[2:3]
	s_add_u32 s36, s36, 8
	s_addc_u32 s37, s37, 0
	s_add_u32 s38, s38, 1
	s_addc_u32 s39, s39, 0
	v_or_b32_e32 v34, v6, v34
	s_cmp_lg_u32 s41, 0
	v_or_b32_e32 v35, v7, v35
	s_cbranch_scc1 .LBB2_806
	s_branch .LBB2_809
.LBB2_807:                              ;   in Loop: Header=BB2_756 Depth=2
	s_branch .LBB2_810
.LBB2_808:                              ;   in Loop: Header=BB2_756 Depth=2
	v_pk_mov_b32 v[34:35], 0, 0
.LBB2_809:                              ;   in Loop: Header=BB2_756 Depth=2
	s_cbranch_execnz .LBB2_811
.LBB2_810:                              ;   in Loop: Header=BB2_756 Depth=2
	global_load_dwordx2 v[34:35], v3, s[4:5]
.LBB2_811:                              ;   in Loop: Header=BB2_756 Depth=2
	v_readfirstlane_b32 s4, v43
	v_cmp_eq_u32_e64 s[4:5], s4, v43
	v_pk_mov_b32 v[6:7], 0, 0
	s_and_saveexec_b64 s[36:37], s[4:5]
	s_cbranch_execz .LBB2_817
; %bb.812:                              ;   in Loop: Header=BB2_756 Depth=2
	global_load_dwordx2 v[38:39], v3, s[34:35] offset:24 glc
	s_waitcnt vmcnt(0)
	buffer_invl2
	buffer_wbinvl1_vol
	global_load_dwordx2 v[6:7], v3, s[34:35] offset:40
	global_load_dwordx2 v[36:37], v3, s[34:35]
	s_waitcnt vmcnt(1)
	v_and_b32_e32 v1, v6, v38
	v_and_b32_e32 v2, v7, v39
	v_mul_lo_u32 v2, v2, 24
	v_mul_hi_u32 v5, v1, 24
	v_mul_lo_u32 v1, v1, 24
	v_add_u32_e32 v2, v5, v2
	s_waitcnt vmcnt(0)
	v_add_co_u32_e32 v6, vcc, v36, v1
	v_addc_co_u32_e32 v7, vcc, v37, v2, vcc
	global_load_dwordx2 v[36:37], v[6:7], off glc
	s_waitcnt vmcnt(0)
	global_atomic_cmpswap_x2 v[6:7], v3, v[36:39], s[34:35] offset:24 glc
	s_waitcnt vmcnt(0)
	buffer_invl2
	buffer_wbinvl1_vol
	v_cmp_ne_u64_e32 vcc, v[6:7], v[38:39]
	s_and_saveexec_b64 s[38:39], vcc
	s_cbranch_execz .LBB2_816
; %bb.813:                              ;   in Loop: Header=BB2_756 Depth=2
	s_mov_b64 s[40:41], 0
.LBB2_814:                              ;   Parent Loop BB2_445 Depth=1
                                        ;     Parent Loop BB2_756 Depth=2
                                        ; =>    This Inner Loop Header: Depth=3
	s_sleep 1
	global_load_dwordx2 v[36:37], v3, s[34:35] offset:40
	global_load_dwordx2 v[40:41], v3, s[34:35]
	v_pk_mov_b32 v[38:39], v[6:7], v[6:7] op_sel:[0,1]
	s_waitcnt vmcnt(1)
	v_and_b32_e32 v2, v36, v38
	s_waitcnt vmcnt(0)
	v_mad_u64_u32 v[6:7], s[42:43], v2, 24, v[40:41]
	v_and_b32_e32 v1, v37, v39
	v_mov_b32_e32 v2, v7
	v_mad_u64_u32 v[36:37], s[42:43], v1, 24, v[2:3]
	v_mov_b32_e32 v7, v36
	global_load_dwordx2 v[36:37], v[6:7], off glc
	s_waitcnt vmcnt(0)
	global_atomic_cmpswap_x2 v[6:7], v3, v[36:39], s[34:35] offset:24 glc
	s_waitcnt vmcnt(0)
	buffer_invl2
	buffer_wbinvl1_vol
	v_cmp_eq_u64_e32 vcc, v[6:7], v[38:39]
	s_or_b64 s[40:41], vcc, s[40:41]
	s_andn2_b64 exec, exec, s[40:41]
	s_cbranch_execnz .LBB2_814
; %bb.815:                              ;   in Loop: Header=BB2_756 Depth=2
	s_or_b64 exec, exec, s[40:41]
.LBB2_816:                              ;   in Loop: Header=BB2_756 Depth=2
	s_or_b64 exec, exec, s[38:39]
.LBB2_817:                              ;   in Loop: Header=BB2_756 Depth=2
	s_or_b64 exec, exec, s[36:37]
	global_load_dwordx2 v[40:41], v3, s[34:35] offset:40
	global_load_dwordx4 v[36:39], v3, s[34:35]
	v_readfirstlane_b32 s36, v6
	v_readfirstlane_b32 s37, v7
	s_mov_b64 s[38:39], exec
	s_waitcnt vmcnt(1)
	v_readfirstlane_b32 s40, v40
	v_readfirstlane_b32 s41, v41
	s_and_b64 s[40:41], s[36:37], s[40:41]
	s_mul_i32 s42, s41, 24
	s_mul_hi_u32 s43, s40, 24
	s_mul_i32 s49, s40, 24
	s_add_i32 s42, s43, s42
	v_mov_b32_e32 v1, s42
	s_waitcnt vmcnt(0)
	v_add_co_u32_e32 v40, vcc, s49, v36
	v_addc_co_u32_e32 v41, vcc, v37, v1, vcc
	s_and_saveexec_b64 s[42:43], s[4:5]
	s_cbranch_execz .LBB2_819
; %bb.818:                              ;   in Loop: Header=BB2_756 Depth=2
	v_pk_mov_b32 v[6:7], s[38:39], s[38:39] op_sel:[0,1]
	global_store_dwordx4 v[40:41], v[6:9], off offset:8
.LBB2_819:                              ;   in Loop: Header=BB2_756 Depth=2
	s_or_b64 exec, exec, s[42:43]
	s_lshl_b64 s[38:39], s[40:41], 12
	v_mov_b32_e32 v1, s39
	v_add_co_u32_e32 v6, vcc, s38, v38
	v_addc_co_u32_e32 v1, vcc, v39, v1, vcc
	v_or_b32_e32 v2, 0, v21
	v_or_b32_e32 v5, v20, v0
	v_cmp_gt_u64_e64 vcc, s[22:23], 56
	s_lshl_b32 s38, s24, 2
	v_cndmask_b32_e32 v21, v2, v21, vcc
	v_cndmask_b32_e32 v2, v5, v20, vcc
	s_add_i32 s38, s38, 28
	s_and_b32 s38, s38, 0x1e0
	v_and_b32_e32 v2, 0xffffff1f, v2
	v_or_b32_e32 v20, s38, v2
	v_readfirstlane_b32 s38, v6
	v_readfirstlane_b32 s39, v1
	s_nop 4
	global_store_dwordx4 v42, v[20:23], s[38:39]
	global_store_dwordx4 v42, v[24:27], s[38:39] offset:16
	global_store_dwordx4 v42, v[28:31], s[38:39] offset:32
	;; [unrolled: 1-line block ×3, first 2 shown]
	s_and_saveexec_b64 s[38:39], s[4:5]
	s_cbranch_execz .LBB2_827
; %bb.820:                              ;   in Loop: Header=BB2_756 Depth=2
	global_load_dwordx2 v[28:29], v3, s[34:35] offset:32 glc
	global_load_dwordx2 v[20:21], v3, s[34:35] offset:40
	v_mov_b32_e32 v26, s36
	v_mov_b32_e32 v27, s37
	s_waitcnt vmcnt(0)
	v_readfirstlane_b32 s40, v20
	v_readfirstlane_b32 s41, v21
	s_and_b64 s[40:41], s[40:41], s[36:37]
	s_mul_i32 s41, s41, 24
	s_mul_hi_u32 s42, s40, 24
	s_mul_i32 s40, s40, 24
	s_add_i32 s41, s42, s41
	v_mov_b32_e32 v2, s41
	v_add_co_u32_e32 v24, vcc, s40, v36
	v_addc_co_u32_e32 v25, vcc, v37, v2, vcc
	global_store_dwordx2 v[24:25], v[28:29], off
	buffer_wbl2
	s_waitcnt vmcnt(0)
	global_atomic_cmpswap_x2 v[22:23], v3, v[26:29], s[34:35] offset:32 glc
	s_waitcnt vmcnt(0)
	v_cmp_ne_u64_e32 vcc, v[22:23], v[28:29]
	s_and_saveexec_b64 s[40:41], vcc
	s_cbranch_execz .LBB2_823
; %bb.821:                              ;   in Loop: Header=BB2_756 Depth=2
	s_mov_b64 s[42:43], 0
.LBB2_822:                              ;   Parent Loop BB2_445 Depth=1
                                        ;     Parent Loop BB2_756 Depth=2
                                        ; =>    This Inner Loop Header: Depth=3
	s_sleep 1
	global_store_dwordx2 v[24:25], v[22:23], off
	v_mov_b32_e32 v20, s36
	v_mov_b32_e32 v21, s37
	buffer_wbl2
	s_waitcnt vmcnt(0)
	global_atomic_cmpswap_x2 v[20:21], v3, v[20:23], s[34:35] offset:32 glc
	s_waitcnt vmcnt(0)
	v_cmp_eq_u64_e32 vcc, v[20:21], v[22:23]
	s_or_b64 s[42:43], vcc, s[42:43]
	v_pk_mov_b32 v[22:23], v[20:21], v[20:21] op_sel:[0,1]
	s_andn2_b64 exec, exec, s[42:43]
	s_cbranch_execnz .LBB2_822
.LBB2_823:                              ;   in Loop: Header=BB2_756 Depth=2
	s_or_b64 exec, exec, s[40:41]
	global_load_dwordx2 v[20:21], v3, s[34:35] offset:16
	s_mov_b64 s[42:43], exec
	v_mbcnt_lo_u32_b32 v2, s42, 0
	v_mbcnt_hi_u32_b32 v2, s43, v2
	v_cmp_eq_u32_e32 vcc, 0, v2
	s_and_saveexec_b64 s[40:41], vcc
	s_cbranch_execz .LBB2_825
; %bb.824:                              ;   in Loop: Header=BB2_756 Depth=2
	s_bcnt1_i32_b64 s42, s[42:43]
	v_mov_b32_e32 v2, s42
	buffer_wbl2
	s_waitcnt vmcnt(0)
	global_atomic_add_x2 v[20:21], v[2:3], off offset:8
.LBB2_825:                              ;   in Loop: Header=BB2_756 Depth=2
	s_or_b64 exec, exec, s[40:41]
	s_waitcnt vmcnt(0)
	global_load_dwordx2 v[22:23], v[20:21], off offset:16
	s_waitcnt vmcnt(0)
	v_cmp_eq_u64_e32 vcc, 0, v[22:23]
	s_cbranch_vccnz .LBB2_827
; %bb.826:                              ;   in Loop: Header=BB2_756 Depth=2
	global_load_dword v2, v[20:21], off offset:24
	buffer_wbl2
	s_waitcnt vmcnt(0)
	global_store_dwordx2 v[22:23], v[2:3], off
	v_and_b32_e32 v2, 0xffffff, v2
	v_readfirstlane_b32 m0, v2
	s_sendmsg sendmsg(MSG_INTERRUPT)
.LBB2_827:                              ;   in Loop: Header=BB2_756 Depth=2
	s_or_b64 exec, exec, s[38:39]
	v_add_co_u32_e32 v6, vcc, v6, v42
	v_addc_co_u32_e32 v7, vcc, 0, v1, vcc
	s_branch .LBB2_831
.LBB2_828:                              ;   in Loop: Header=BB2_831 Depth=3
	s_or_b64 exec, exec, s[38:39]
	v_readfirstlane_b32 s38, v1
	s_cmp_eq_u32 s38, 0
	s_cbranch_scc1 .LBB2_830
; %bb.829:                              ;   in Loop: Header=BB2_831 Depth=3
	s_sleep 1
	s_cbranch_execnz .LBB2_831
	s_branch .LBB2_833
.LBB2_830:                              ;   in Loop: Header=BB2_756 Depth=2
	s_branch .LBB2_833
.LBB2_831:                              ;   Parent Loop BB2_445 Depth=1
                                        ;     Parent Loop BB2_756 Depth=2
                                        ; =>    This Inner Loop Header: Depth=3
	v_mov_b32_e32 v1, 1
	s_and_saveexec_b64 s[38:39], s[4:5]
	s_cbranch_execz .LBB2_828
; %bb.832:                              ;   in Loop: Header=BB2_831 Depth=3
	global_load_dword v1, v[40:41], off offset:20 glc
	s_waitcnt vmcnt(0)
	buffer_invl2
	buffer_wbinvl1_vol
	v_and_b32_e32 v1, 1, v1
	s_branch .LBB2_828
.LBB2_833:                              ;   in Loop: Header=BB2_756 Depth=2
	global_load_dwordx4 v[20:23], v[6:7], off
	s_and_saveexec_b64 s[38:39], s[4:5]
	s_cbranch_execz .LBB2_755
; %bb.834:                              ;   in Loop: Header=BB2_756 Depth=2
	global_load_dwordx2 v[6:7], v3, s[34:35] offset:40
	global_load_dwordx2 v[26:27], v3, s[34:35] offset:24 glc
	global_load_dwordx2 v[28:29], v3, s[34:35]
	v_mov_b32_e32 v1, s37
	s_waitcnt vmcnt(2)
	v_add_co_u32_e32 v2, vcc, 1, v6
	v_addc_co_u32_e32 v5, vcc, 0, v7, vcc
	v_add_co_u32_e32 v22, vcc, s36, v2
	v_addc_co_u32_e32 v23, vcc, v5, v1, vcc
	v_cmp_eq_u64_e32 vcc, 0, v[22:23]
	v_cndmask_b32_e32 v23, v23, v5, vcc
	v_cndmask_b32_e32 v22, v22, v2, vcc
	v_and_b32_e32 v1, v23, v7
	v_and_b32_e32 v2, v22, v6
	v_mul_lo_u32 v1, v1, 24
	v_mul_hi_u32 v5, v2, 24
	v_mul_lo_u32 v2, v2, 24
	v_add_u32_e32 v1, v5, v1
	s_waitcnt vmcnt(0)
	v_add_co_u32_e32 v6, vcc, v28, v2
	v_addc_co_u32_e32 v7, vcc, v29, v1, vcc
	v_mov_b32_e32 v24, v26
	global_store_dwordx2 v[6:7], v[26:27], off
	v_mov_b32_e32 v25, v27
	buffer_wbl2
	s_waitcnt vmcnt(0)
	global_atomic_cmpswap_x2 v[24:25], v3, v[22:25], s[34:35] offset:24 glc
	s_waitcnt vmcnt(0)
	v_cmp_ne_u64_e32 vcc, v[24:25], v[26:27]
	s_and_b64 exec, exec, vcc
	s_cbranch_execz .LBB2_755
; %bb.835:                              ;   in Loop: Header=BB2_756 Depth=2
	s_mov_b64 s[4:5], 0
.LBB2_836:                              ;   Parent Loop BB2_445 Depth=1
                                        ;     Parent Loop BB2_756 Depth=2
                                        ; =>    This Inner Loop Header: Depth=3
	s_sleep 1
	global_store_dwordx2 v[6:7], v[24:25], off
	buffer_wbl2
	s_waitcnt vmcnt(0)
	global_atomic_cmpswap_x2 v[26:27], v3, v[22:25], s[34:35] offset:24 glc
	s_waitcnt vmcnt(0)
	v_cmp_eq_u64_e32 vcc, v[26:27], v[24:25]
	s_or_b64 s[4:5], vcc, s[4:5]
	v_pk_mov_b32 v[24:25], v[26:27], v[26:27] op_sel:[0,1]
	s_andn2_b64 exec, exec, s[4:5]
	s_cbranch_execnz .LBB2_836
	s_branch .LBB2_755
.LBB2_837:                              ;   in Loop: Header=BB2_445 Depth=1
	s_branch .LBB2_866
.LBB2_838:                              ;   in Loop: Header=BB2_445 Depth=1
                                        ; implicit-def: $vgpr20_vgpr21
	s_cbranch_execz .LBB2_866
; %bb.839:                              ;   in Loop: Header=BB2_445 Depth=1
	v_readfirstlane_b32 s4, v43
	v_cmp_eq_u32_e64 s[4:5], s4, v43
	s_waitcnt vmcnt(0)
	v_pk_mov_b32 v[0:1], 0, 0
	s_and_saveexec_b64 s[20:21], s[4:5]
	s_cbranch_execz .LBB2_845
; %bb.840:                              ;   in Loop: Header=BB2_445 Depth=1
	global_load_dwordx2 v[22:23], v3, s[34:35] offset:24 glc
	s_waitcnt vmcnt(0)
	buffer_invl2
	buffer_wbinvl1_vol
	global_load_dwordx2 v[0:1], v3, s[34:35] offset:40
	global_load_dwordx2 v[6:7], v3, s[34:35]
	s_waitcnt vmcnt(1)
	v_and_b32_e32 v0, v0, v22
	v_and_b32_e32 v1, v1, v23
	v_mul_lo_u32 v1, v1, 24
	v_mul_hi_u32 v2, v0, 24
	v_mul_lo_u32 v0, v0, 24
	v_add_u32_e32 v1, v2, v1
	s_waitcnt vmcnt(0)
	v_add_co_u32_e32 v0, vcc, v6, v0
	v_addc_co_u32_e32 v1, vcc, v7, v1, vcc
	global_load_dwordx2 v[20:21], v[0:1], off glc
	s_waitcnt vmcnt(0)
	global_atomic_cmpswap_x2 v[0:1], v3, v[20:23], s[34:35] offset:24 glc
	s_waitcnt vmcnt(0)
	buffer_invl2
	buffer_wbinvl1_vol
	v_cmp_ne_u64_e32 vcc, v[0:1], v[22:23]
	s_and_saveexec_b64 s[22:23], vcc
	s_cbranch_execz .LBB2_844
; %bb.841:                              ;   in Loop: Header=BB2_445 Depth=1
	s_mov_b64 s[24:25], 0
.LBB2_842:                              ;   Parent Loop BB2_445 Depth=1
                                        ; =>  This Inner Loop Header: Depth=2
	s_sleep 1
	global_load_dwordx2 v[6:7], v3, s[34:35] offset:40
	global_load_dwordx2 v[20:21], v3, s[34:35]
	v_pk_mov_b32 v[22:23], v[0:1], v[0:1] op_sel:[0,1]
	s_waitcnt vmcnt(1)
	v_and_b32_e32 v0, v6, v22
	s_waitcnt vmcnt(0)
	v_mad_u64_u32 v[0:1], s[36:37], v0, 24, v[20:21]
	v_and_b32_e32 v5, v7, v23
	v_mov_b32_e32 v2, v1
	v_mad_u64_u32 v[6:7], s[36:37], v5, 24, v[2:3]
	v_mov_b32_e32 v1, v6
	global_load_dwordx2 v[20:21], v[0:1], off glc
	s_waitcnt vmcnt(0)
	global_atomic_cmpswap_x2 v[0:1], v3, v[20:23], s[34:35] offset:24 glc
	s_waitcnt vmcnt(0)
	buffer_invl2
	buffer_wbinvl1_vol
	v_cmp_eq_u64_e32 vcc, v[0:1], v[22:23]
	s_or_b64 s[24:25], vcc, s[24:25]
	s_andn2_b64 exec, exec, s[24:25]
	s_cbranch_execnz .LBB2_842
; %bb.843:                              ;   in Loop: Header=BB2_445 Depth=1
	s_or_b64 exec, exec, s[24:25]
.LBB2_844:                              ;   in Loop: Header=BB2_445 Depth=1
	s_or_b64 exec, exec, s[22:23]
.LBB2_845:                              ;   in Loop: Header=BB2_445 Depth=1
	s_or_b64 exec, exec, s[20:21]
	global_load_dwordx2 v[6:7], v3, s[34:35] offset:40
	global_load_dwordx4 v[22:25], v3, s[34:35]
	v_readfirstlane_b32 s20, v0
	v_readfirstlane_b32 s21, v1
	s_mov_b64 s[22:23], exec
	s_waitcnt vmcnt(1)
	v_readfirstlane_b32 s24, v6
	v_readfirstlane_b32 s25, v7
	s_and_b64 s[24:25], s[20:21], s[24:25]
	s_mul_i32 s36, s25, 24
	s_mul_hi_u32 s37, s24, 24
	s_mul_i32 s38, s24, 24
	s_add_i32 s36, s37, s36
	v_mov_b32_e32 v1, s36
	s_waitcnt vmcnt(0)
	v_add_co_u32_e32 v0, vcc, s38, v22
	v_addc_co_u32_e32 v1, vcc, v23, v1, vcc
	s_and_saveexec_b64 s[36:37], s[4:5]
	s_cbranch_execz .LBB2_847
; %bb.846:                              ;   in Loop: Header=BB2_445 Depth=1
	v_pk_mov_b32 v[6:7], s[22:23], s[22:23] op_sel:[0,1]
	global_store_dwordx4 v[0:1], v[6:9], off offset:8
.LBB2_847:                              ;   in Loop: Header=BB2_445 Depth=1
	s_or_b64 exec, exec, s[36:37]
	s_lshl_b64 s[22:23], s[24:25], 12
	v_mov_b32_e32 v2, s23
	v_add_co_u32_e32 v6, vcc, s22, v24
	v_addc_co_u32_e32 v5, vcc, v25, v2, vcc
	v_and_or_b32 v18, v18, s47, 32
	v_mov_b32_e32 v20, v3
	v_mov_b32_e32 v21, v3
	v_readfirstlane_b32 s22, v6
	v_readfirstlane_b32 s23, v5
	s_nop 4
	global_store_dwordx4 v42, v[18:21], s[22:23]
	s_nop 0
	v_pk_mov_b32 v[20:21], s[10:11], s[10:11] op_sel:[0,1]
	v_pk_mov_b32 v[18:19], s[8:9], s[8:9] op_sel:[0,1]
	global_store_dwordx4 v42, v[18:21], s[22:23] offset:16
	global_store_dwordx4 v42, v[18:21], s[22:23] offset:32
	;; [unrolled: 1-line block ×3, first 2 shown]
	s_and_saveexec_b64 s[22:23], s[4:5]
	s_cbranch_execz .LBB2_855
; %bb.848:                              ;   in Loop: Header=BB2_445 Depth=1
	global_load_dwordx2 v[26:27], v3, s[34:35] offset:32 glc
	global_load_dwordx2 v[18:19], v3, s[34:35] offset:40
	v_mov_b32_e32 v24, s20
	v_mov_b32_e32 v25, s21
	s_waitcnt vmcnt(0)
	v_readfirstlane_b32 s24, v18
	v_readfirstlane_b32 s25, v19
	s_and_b64 s[24:25], s[24:25], s[20:21]
	s_mul_i32 s25, s25, 24
	s_mul_hi_u32 s36, s24, 24
	s_mul_i32 s24, s24, 24
	s_add_i32 s25, s36, s25
	v_mov_b32_e32 v2, s25
	v_add_co_u32_e32 v22, vcc, s24, v22
	v_addc_co_u32_e32 v23, vcc, v23, v2, vcc
	global_store_dwordx2 v[22:23], v[26:27], off
	buffer_wbl2
	s_waitcnt vmcnt(0)
	global_atomic_cmpswap_x2 v[20:21], v3, v[24:27], s[34:35] offset:32 glc
	s_waitcnt vmcnt(0)
	v_cmp_ne_u64_e32 vcc, v[20:21], v[26:27]
	s_and_saveexec_b64 s[24:25], vcc
	s_cbranch_execz .LBB2_851
; %bb.849:                              ;   in Loop: Header=BB2_445 Depth=1
	s_mov_b64 s[36:37], 0
.LBB2_850:                              ;   Parent Loop BB2_445 Depth=1
                                        ; =>  This Inner Loop Header: Depth=2
	s_sleep 1
	global_store_dwordx2 v[22:23], v[20:21], off
	v_mov_b32_e32 v18, s20
	v_mov_b32_e32 v19, s21
	buffer_wbl2
	s_waitcnt vmcnt(0)
	global_atomic_cmpswap_x2 v[18:19], v3, v[18:21], s[34:35] offset:32 glc
	s_waitcnt vmcnt(0)
	v_cmp_eq_u64_e32 vcc, v[18:19], v[20:21]
	s_or_b64 s[36:37], vcc, s[36:37]
	v_pk_mov_b32 v[20:21], v[18:19], v[18:19] op_sel:[0,1]
	s_andn2_b64 exec, exec, s[36:37]
	s_cbranch_execnz .LBB2_850
.LBB2_851:                              ;   in Loop: Header=BB2_445 Depth=1
	s_or_b64 exec, exec, s[24:25]
	global_load_dwordx2 v[18:19], v3, s[34:35] offset:16
	s_mov_b64 s[36:37], exec
	v_mbcnt_lo_u32_b32 v2, s36, 0
	v_mbcnt_hi_u32_b32 v2, s37, v2
	v_cmp_eq_u32_e32 vcc, 0, v2
	s_and_saveexec_b64 s[24:25], vcc
	s_cbranch_execz .LBB2_853
; %bb.852:                              ;   in Loop: Header=BB2_445 Depth=1
	s_bcnt1_i32_b64 s36, s[36:37]
	v_mov_b32_e32 v2, s36
	buffer_wbl2
	s_waitcnt vmcnt(0)
	global_atomic_add_x2 v[18:19], v[2:3], off offset:8
.LBB2_853:                              ;   in Loop: Header=BB2_445 Depth=1
	s_or_b64 exec, exec, s[24:25]
	s_waitcnt vmcnt(0)
	global_load_dwordx2 v[20:21], v[18:19], off offset:16
	s_waitcnt vmcnt(0)
	v_cmp_eq_u64_e32 vcc, 0, v[20:21]
	s_cbranch_vccnz .LBB2_855
; %bb.854:                              ;   in Loop: Header=BB2_445 Depth=1
	global_load_dword v2, v[18:19], off offset:24
	buffer_wbl2
	s_waitcnt vmcnt(0)
	global_store_dwordx2 v[20:21], v[2:3], off
	v_and_b32_e32 v2, 0xffffff, v2
	v_readfirstlane_b32 m0, v2
	s_sendmsg sendmsg(MSG_INTERRUPT)
.LBB2_855:                              ;   in Loop: Header=BB2_445 Depth=1
	s_or_b64 exec, exec, s[22:23]
	v_add_co_u32_e32 v6, vcc, v6, v42
	v_addc_co_u32_e32 v7, vcc, 0, v5, vcc
	s_branch .LBB2_859
.LBB2_856:                              ;   in Loop: Header=BB2_859 Depth=2
	s_or_b64 exec, exec, s[22:23]
	v_readfirstlane_b32 s22, v2
	s_cmp_eq_u32 s22, 0
	s_cbranch_scc1 .LBB2_858
; %bb.857:                              ;   in Loop: Header=BB2_859 Depth=2
	s_sleep 1
	s_cbranch_execnz .LBB2_859
	s_branch .LBB2_861
.LBB2_858:                              ;   in Loop: Header=BB2_445 Depth=1
	s_branch .LBB2_861
.LBB2_859:                              ;   Parent Loop BB2_445 Depth=1
                                        ; =>  This Inner Loop Header: Depth=2
	v_mov_b32_e32 v2, 1
	s_and_saveexec_b64 s[22:23], s[4:5]
	s_cbranch_execz .LBB2_856
; %bb.860:                              ;   in Loop: Header=BB2_859 Depth=2
	global_load_dword v2, v[0:1], off offset:20 glc
	s_waitcnt vmcnt(0)
	buffer_invl2
	buffer_wbinvl1_vol
	v_and_b32_e32 v2, 1, v2
	s_branch .LBB2_856
.LBB2_861:                              ;   in Loop: Header=BB2_445 Depth=1
	global_load_dwordx2 v[20:21], v[6:7], off
	s_and_saveexec_b64 s[22:23], s[4:5]
	s_cbranch_execz .LBB2_865
; %bb.862:                              ;   in Loop: Header=BB2_445 Depth=1
	global_load_dwordx2 v[0:1], v3, s[34:35] offset:40
	global_load_dwordx2 v[6:7], v3, s[34:35] offset:24 glc
	global_load_dwordx2 v[18:19], v3, s[34:35]
	v_mov_b32_e32 v2, s21
	s_waitcnt vmcnt(2)
	v_add_co_u32_e32 v5, vcc, 1, v0
	v_addc_co_u32_e32 v25, vcc, 0, v1, vcc
	v_add_co_u32_e32 v22, vcc, s20, v5
	v_addc_co_u32_e32 v23, vcc, v25, v2, vcc
	v_cmp_eq_u64_e32 vcc, 0, v[22:23]
	v_cndmask_b32_e32 v23, v23, v25, vcc
	v_cndmask_b32_e32 v22, v22, v5, vcc
	v_and_b32_e32 v1, v23, v1
	v_and_b32_e32 v0, v22, v0
	v_mul_lo_u32 v1, v1, 24
	v_mul_hi_u32 v2, v0, 24
	v_mul_lo_u32 v0, v0, 24
	v_add_u32_e32 v1, v2, v1
	s_waitcnt vmcnt(0)
	v_add_co_u32_e32 v0, vcc, v18, v0
	v_addc_co_u32_e32 v1, vcc, v19, v1, vcc
	v_mov_b32_e32 v24, v6
	global_store_dwordx2 v[0:1], v[6:7], off
	v_mov_b32_e32 v25, v7
	buffer_wbl2
	s_waitcnt vmcnt(0)
	global_atomic_cmpswap_x2 v[24:25], v3, v[22:25], s[34:35] offset:24 glc
	s_waitcnt vmcnt(0)
	v_cmp_ne_u64_e32 vcc, v[24:25], v[6:7]
	s_and_b64 exec, exec, vcc
	s_cbranch_execz .LBB2_865
; %bb.863:                              ;   in Loop: Header=BB2_445 Depth=1
	s_mov_b64 s[4:5], 0
.LBB2_864:                              ;   Parent Loop BB2_445 Depth=1
                                        ; =>  This Inner Loop Header: Depth=2
	s_sleep 1
	global_store_dwordx2 v[0:1], v[24:25], off
	buffer_wbl2
	s_waitcnt vmcnt(0)
	global_atomic_cmpswap_x2 v[6:7], v3, v[22:25], s[34:35] offset:24 glc
	s_waitcnt vmcnt(0)
	v_cmp_eq_u64_e32 vcc, v[6:7], v[24:25]
	s_or_b64 s[4:5], vcc, s[4:5]
	v_pk_mov_b32 v[24:25], v[6:7], v[6:7] op_sel:[0,1]
	s_andn2_b64 exec, exec, s[4:5]
	s_cbranch_execnz .LBB2_864
.LBB2_865:                              ;   in Loop: Header=BB2_445 Depth=1
	s_or_b64 exec, exec, s[22:23]
.LBB2_866:                              ;   in Loop: Header=BB2_445 Depth=1
	v_readfirstlane_b32 s4, v43
	v_cmp_eq_u32_e64 s[4:5], s4, v43
	s_waitcnt vmcnt(0)
	v_pk_mov_b32 v[0:1], 0, 0
	s_and_saveexec_b64 s[20:21], s[4:5]
	s_cbranch_execz .LBB2_872
; %bb.867:                              ;   in Loop: Header=BB2_445 Depth=1
	global_load_dwordx2 v[24:25], v3, s[34:35] offset:24 glc
	s_waitcnt vmcnt(0)
	buffer_invl2
	buffer_wbinvl1_vol
	global_load_dwordx2 v[0:1], v3, s[34:35] offset:40
	global_load_dwordx2 v[6:7], v3, s[34:35]
	s_waitcnt vmcnt(1)
	v_and_b32_e32 v0, v0, v24
	v_and_b32_e32 v1, v1, v25
	v_mul_lo_u32 v1, v1, 24
	v_mul_hi_u32 v2, v0, 24
	v_mul_lo_u32 v0, v0, 24
	v_add_u32_e32 v1, v2, v1
	s_waitcnt vmcnt(0)
	v_add_co_u32_e32 v0, vcc, v6, v0
	v_addc_co_u32_e32 v1, vcc, v7, v1, vcc
	global_load_dwordx2 v[22:23], v[0:1], off glc
	s_waitcnt vmcnt(0)
	global_atomic_cmpswap_x2 v[0:1], v3, v[22:25], s[34:35] offset:24 glc
	s_waitcnt vmcnt(0)
	buffer_invl2
	buffer_wbinvl1_vol
	v_cmp_ne_u64_e32 vcc, v[0:1], v[24:25]
	s_and_saveexec_b64 s[22:23], vcc
	s_cbranch_execz .LBB2_871
; %bb.868:                              ;   in Loop: Header=BB2_445 Depth=1
	s_mov_b64 s[24:25], 0
.LBB2_869:                              ;   Parent Loop BB2_445 Depth=1
                                        ; =>  This Inner Loop Header: Depth=2
	s_sleep 1
	global_load_dwordx2 v[6:7], v3, s[34:35] offset:40
	global_load_dwordx2 v[18:19], v3, s[34:35]
	v_pk_mov_b32 v[24:25], v[0:1], v[0:1] op_sel:[0,1]
	s_waitcnt vmcnt(1)
	v_and_b32_e32 v0, v6, v24
	s_waitcnt vmcnt(0)
	v_mad_u64_u32 v[0:1], s[36:37], v0, 24, v[18:19]
	v_and_b32_e32 v5, v7, v25
	v_mov_b32_e32 v2, v1
	v_mad_u64_u32 v[6:7], s[36:37], v5, 24, v[2:3]
	v_mov_b32_e32 v1, v6
	global_load_dwordx2 v[22:23], v[0:1], off glc
	s_waitcnt vmcnt(0)
	global_atomic_cmpswap_x2 v[0:1], v3, v[22:25], s[34:35] offset:24 glc
	s_waitcnt vmcnt(0)
	buffer_invl2
	buffer_wbinvl1_vol
	v_cmp_eq_u64_e32 vcc, v[0:1], v[24:25]
	s_or_b64 s[24:25], vcc, s[24:25]
	s_andn2_b64 exec, exec, s[24:25]
	s_cbranch_execnz .LBB2_869
; %bb.870:                              ;   in Loop: Header=BB2_445 Depth=1
	s_or_b64 exec, exec, s[24:25]
.LBB2_871:                              ;   in Loop: Header=BB2_445 Depth=1
	s_or_b64 exec, exec, s[22:23]
.LBB2_872:                              ;   in Loop: Header=BB2_445 Depth=1
	s_or_b64 exec, exec, s[20:21]
	global_load_dwordx2 v[6:7], v3, s[34:35] offset:40
	global_load_dwordx4 v[24:27], v3, s[34:35]
	v_readfirstlane_b32 s20, v0
	v_readfirstlane_b32 s21, v1
	s_mov_b64 s[22:23], exec
	s_waitcnt vmcnt(1)
	v_readfirstlane_b32 s24, v6
	v_readfirstlane_b32 s25, v7
	s_and_b64 s[24:25], s[20:21], s[24:25]
	s_mul_i32 s36, s25, 24
	s_mul_hi_u32 s37, s24, 24
	s_mul_i32 s38, s24, 24
	s_add_i32 s36, s37, s36
	v_mov_b32_e32 v1, s36
	s_waitcnt vmcnt(0)
	v_add_co_u32_e32 v0, vcc, s38, v24
	v_addc_co_u32_e32 v1, vcc, v25, v1, vcc
	s_and_saveexec_b64 s[36:37], s[4:5]
	s_cbranch_execz .LBB2_874
; %bb.873:                              ;   in Loop: Header=BB2_445 Depth=1
	v_pk_mov_b32 v[6:7], s[22:23], s[22:23] op_sel:[0,1]
	global_store_dwordx4 v[0:1], v[6:9], off offset:8
.LBB2_874:                              ;   in Loop: Header=BB2_445 Depth=1
	s_or_b64 exec, exec, s[36:37]
	s_lshl_b64 s[22:23], s[24:25], 12
	v_mov_b32_e32 v5, s23
	v_add_co_u32_e32 v2, vcc, s22, v26
	v_addc_co_u32_e32 v5, vcc, v27, v5, vcc
	s_ashr_i32 s22, s29, 1
	v_and_or_b32 v20, v20, s48, 34
	v_mov_b32_e32 v22, s22
	v_mov_b32_e32 v23, v3
	v_readfirstlane_b32 s22, v2
	v_readfirstlane_b32 s23, v5
	s_nop 4
	global_store_dwordx4 v42, v[20:23], s[22:23]
	s_nop 0
	v_pk_mov_b32 v[20:21], s[10:11], s[10:11] op_sel:[0,1]
	v_pk_mov_b32 v[18:19], s[8:9], s[8:9] op_sel:[0,1]
	global_store_dwordx4 v42, v[18:21], s[22:23] offset:16
	global_store_dwordx4 v42, v[18:21], s[22:23] offset:32
	;; [unrolled: 1-line block ×3, first 2 shown]
	s_and_saveexec_b64 s[22:23], s[4:5]
	s_cbranch_execz .LBB2_882
; %bb.875:                              ;   in Loop: Header=BB2_445 Depth=1
	global_load_dwordx2 v[22:23], v3, s[34:35] offset:32 glc
	global_load_dwordx2 v[6:7], v3, s[34:35] offset:40
	v_mov_b32_e32 v20, s20
	v_mov_b32_e32 v21, s21
	s_waitcnt vmcnt(0)
	v_readfirstlane_b32 s24, v6
	v_readfirstlane_b32 s25, v7
	s_and_b64 s[24:25], s[24:25], s[20:21]
	s_mul_i32 s25, s25, 24
	s_mul_hi_u32 s29, s24, 24
	s_mul_i32 s24, s24, 24
	s_add_i32 s25, s29, s25
	v_mov_b32_e32 v2, s25
	v_add_co_u32_e32 v6, vcc, s24, v24
	v_addc_co_u32_e32 v7, vcc, v25, v2, vcc
	global_store_dwordx2 v[6:7], v[22:23], off
	buffer_wbl2
	s_waitcnt vmcnt(0)
	global_atomic_cmpswap_x2 v[20:21], v3, v[20:23], s[34:35] offset:32 glc
	s_waitcnt vmcnt(0)
	v_cmp_ne_u64_e32 vcc, v[20:21], v[22:23]
	s_and_saveexec_b64 s[24:25], vcc
	s_cbranch_execz .LBB2_878
; %bb.876:                              ;   in Loop: Header=BB2_445 Depth=1
	s_mov_b64 s[36:37], 0
.LBB2_877:                              ;   Parent Loop BB2_445 Depth=1
                                        ; =>  This Inner Loop Header: Depth=2
	s_sleep 1
	global_store_dwordx2 v[6:7], v[20:21], off
	v_mov_b32_e32 v18, s20
	v_mov_b32_e32 v19, s21
	buffer_wbl2
	s_waitcnt vmcnt(0)
	global_atomic_cmpswap_x2 v[18:19], v3, v[18:21], s[34:35] offset:32 glc
	s_waitcnt vmcnt(0)
	v_cmp_eq_u64_e32 vcc, v[18:19], v[20:21]
	s_or_b64 s[36:37], vcc, s[36:37]
	v_pk_mov_b32 v[20:21], v[18:19], v[18:19] op_sel:[0,1]
	s_andn2_b64 exec, exec, s[36:37]
	s_cbranch_execnz .LBB2_877
.LBB2_878:                              ;   in Loop: Header=BB2_445 Depth=1
	s_or_b64 exec, exec, s[24:25]
	global_load_dwordx2 v[6:7], v3, s[34:35] offset:16
	s_mov_b64 s[36:37], exec
	v_mbcnt_lo_u32_b32 v2, s36, 0
	v_mbcnt_hi_u32_b32 v2, s37, v2
	v_cmp_eq_u32_e32 vcc, 0, v2
	s_and_saveexec_b64 s[24:25], vcc
	s_cbranch_execz .LBB2_880
; %bb.879:                              ;   in Loop: Header=BB2_445 Depth=1
	s_bcnt1_i32_b64 s29, s[36:37]
	v_mov_b32_e32 v2, s29
	buffer_wbl2
	s_waitcnt vmcnt(0)
	global_atomic_add_x2 v[6:7], v[2:3], off offset:8
.LBB2_880:                              ;   in Loop: Header=BB2_445 Depth=1
	s_or_b64 exec, exec, s[24:25]
	s_waitcnt vmcnt(0)
	global_load_dwordx2 v[18:19], v[6:7], off offset:16
	s_waitcnt vmcnt(0)
	v_cmp_eq_u64_e32 vcc, 0, v[18:19]
	s_cbranch_vccnz .LBB2_882
; %bb.881:                              ;   in Loop: Header=BB2_445 Depth=1
	global_load_dword v2, v[6:7], off offset:24
	buffer_wbl2
	s_waitcnt vmcnt(0)
	global_store_dwordx2 v[18:19], v[2:3], off
	v_and_b32_e32 v2, 0xffffff, v2
	v_readfirstlane_b32 m0, v2
	s_sendmsg sendmsg(MSG_INTERRUPT)
.LBB2_882:                              ;   in Loop: Header=BB2_445 Depth=1
	s_or_b64 exec, exec, s[22:23]
	s_branch .LBB2_886
.LBB2_883:                              ;   in Loop: Header=BB2_886 Depth=2
	s_or_b64 exec, exec, s[22:23]
	v_readfirstlane_b32 s22, v2
	s_cmp_eq_u32 s22, 0
	s_cbranch_scc1 .LBB2_885
; %bb.884:                              ;   in Loop: Header=BB2_886 Depth=2
	s_sleep 1
	s_cbranch_execnz .LBB2_886
	s_branch .LBB2_888
.LBB2_885:                              ;   in Loop: Header=BB2_445 Depth=1
	s_branch .LBB2_888
.LBB2_886:                              ;   Parent Loop BB2_445 Depth=1
                                        ; =>  This Inner Loop Header: Depth=2
	v_mov_b32_e32 v2, 1
	s_and_saveexec_b64 s[22:23], s[4:5]
	s_cbranch_execz .LBB2_883
; %bb.887:                              ;   in Loop: Header=BB2_886 Depth=2
	global_load_dword v2, v[0:1], off offset:20 glc
	s_waitcnt vmcnt(0)
	buffer_invl2
	buffer_wbinvl1_vol
	v_and_b32_e32 v2, 1, v2
	s_branch .LBB2_883
.LBB2_888:                              ;   in Loop: Header=BB2_445 Depth=1
	s_and_saveexec_b64 s[22:23], s[4:5]
	s_cbranch_execz .LBB2_892
; %bb.889:                              ;   in Loop: Header=BB2_445 Depth=1
	global_load_dwordx2 v[0:1], v3, s[34:35] offset:40
	global_load_dwordx2 v[6:7], v3, s[34:35] offset:24 glc
	global_load_dwordx2 v[22:23], v3, s[34:35]
	v_mov_b32_e32 v2, s21
	s_waitcnt vmcnt(2)
	v_add_co_u32_e32 v5, vcc, 1, v0
	v_addc_co_u32_e32 v21, vcc, 0, v1, vcc
	v_add_co_u32_e32 v18, vcc, s20, v5
	v_addc_co_u32_e32 v19, vcc, v21, v2, vcc
	v_cmp_eq_u64_e32 vcc, 0, v[18:19]
	v_cndmask_b32_e32 v19, v19, v21, vcc
	v_cndmask_b32_e32 v18, v18, v5, vcc
	v_and_b32_e32 v1, v19, v1
	v_and_b32_e32 v0, v18, v0
	v_mul_lo_u32 v1, v1, 24
	v_mul_hi_u32 v2, v0, 24
	v_mul_lo_u32 v0, v0, 24
	v_add_u32_e32 v1, v2, v1
	s_waitcnt vmcnt(0)
	v_add_co_u32_e32 v0, vcc, v22, v0
	v_addc_co_u32_e32 v1, vcc, v23, v1, vcc
	v_mov_b32_e32 v20, v6
	global_store_dwordx2 v[0:1], v[6:7], off
	v_mov_b32_e32 v21, v7
	buffer_wbl2
	s_waitcnt vmcnt(0)
	global_atomic_cmpswap_x2 v[20:21], v3, v[18:21], s[34:35] offset:24 glc
	s_waitcnt vmcnt(0)
	v_cmp_ne_u64_e32 vcc, v[20:21], v[6:7]
	s_and_b64 exec, exec, vcc
	s_cbranch_execz .LBB2_892
; %bb.890:                              ;   in Loop: Header=BB2_445 Depth=1
	s_mov_b64 s[4:5], 0
.LBB2_891:                              ;   Parent Loop BB2_445 Depth=1
                                        ; =>  This Inner Loop Header: Depth=2
	s_sleep 1
	global_store_dwordx2 v[0:1], v[20:21], off
	buffer_wbl2
	s_waitcnt vmcnt(0)
	global_atomic_cmpswap_x2 v[6:7], v3, v[18:21], s[34:35] offset:24 glc
	s_waitcnt vmcnt(0)
	v_cmp_eq_u64_e32 vcc, v[6:7], v[20:21]
	s_or_b64 s[4:5], vcc, s[4:5]
	v_pk_mov_b32 v[20:21], v[6:7], v[6:7] op_sel:[0,1]
	s_andn2_b64 exec, exec, s[4:5]
	s_cbranch_execnz .LBB2_891
.LBB2_892:                              ;   in Loop: Header=BB2_445 Depth=1
	s_or_b64 exec, exec, s[22:23]
	v_readfirstlane_b32 s4, v43
	v_cmp_eq_u32_e64 s[4:5], s4, v43
	v_pk_mov_b32 v[0:1], 0, 0
	s_and_saveexec_b64 s[20:21], s[4:5]
	s_cbranch_execz .LBB2_898
; %bb.893:                              ;   in Loop: Header=BB2_445 Depth=1
	global_load_dwordx2 v[20:21], v3, s[34:35] offset:24 glc
	s_waitcnt vmcnt(0)
	buffer_invl2
	buffer_wbinvl1_vol
	global_load_dwordx2 v[0:1], v3, s[34:35] offset:40
	global_load_dwordx2 v[6:7], v3, s[34:35]
	s_waitcnt vmcnt(1)
	v_and_b32_e32 v0, v0, v20
	v_and_b32_e32 v1, v1, v21
	v_mul_lo_u32 v1, v1, 24
	v_mul_hi_u32 v2, v0, 24
	v_mul_lo_u32 v0, v0, 24
	v_add_u32_e32 v1, v2, v1
	s_waitcnt vmcnt(0)
	v_add_co_u32_e32 v0, vcc, v6, v0
	v_addc_co_u32_e32 v1, vcc, v7, v1, vcc
	global_load_dwordx2 v[18:19], v[0:1], off glc
	s_waitcnt vmcnt(0)
	global_atomic_cmpswap_x2 v[0:1], v3, v[18:21], s[34:35] offset:24 glc
	s_waitcnt vmcnt(0)
	buffer_invl2
	buffer_wbinvl1_vol
	v_cmp_ne_u64_e32 vcc, v[0:1], v[20:21]
	s_and_saveexec_b64 s[22:23], vcc
	s_cbranch_execz .LBB2_897
; %bb.894:                              ;   in Loop: Header=BB2_445 Depth=1
	s_mov_b64 s[24:25], 0
.LBB2_895:                              ;   Parent Loop BB2_445 Depth=1
                                        ; =>  This Inner Loop Header: Depth=2
	s_sleep 1
	global_load_dwordx2 v[6:7], v3, s[34:35] offset:40
	global_load_dwordx2 v[18:19], v3, s[34:35]
	v_pk_mov_b32 v[20:21], v[0:1], v[0:1] op_sel:[0,1]
	s_waitcnt vmcnt(1)
	v_and_b32_e32 v0, v6, v20
	s_waitcnt vmcnt(0)
	v_mad_u64_u32 v[0:1], s[36:37], v0, 24, v[18:19]
	v_and_b32_e32 v5, v7, v21
	v_mov_b32_e32 v2, v1
	v_mad_u64_u32 v[6:7], s[36:37], v5, 24, v[2:3]
	v_mov_b32_e32 v1, v6
	global_load_dwordx2 v[18:19], v[0:1], off glc
	s_waitcnt vmcnt(0)
	global_atomic_cmpswap_x2 v[0:1], v3, v[18:21], s[34:35] offset:24 glc
	s_waitcnt vmcnt(0)
	buffer_invl2
	buffer_wbinvl1_vol
	v_cmp_eq_u64_e32 vcc, v[0:1], v[20:21]
	s_or_b64 s[24:25], vcc, s[24:25]
	s_andn2_b64 exec, exec, s[24:25]
	s_cbranch_execnz .LBB2_895
; %bb.896:                              ;   in Loop: Header=BB2_445 Depth=1
	s_or_b64 exec, exec, s[24:25]
.LBB2_897:                              ;   in Loop: Header=BB2_445 Depth=1
	s_or_b64 exec, exec, s[22:23]
.LBB2_898:                              ;   in Loop: Header=BB2_445 Depth=1
	s_or_b64 exec, exec, s[20:21]
	global_load_dwordx2 v[6:7], v3, s[34:35] offset:40
	global_load_dwordx4 v[18:21], v3, s[34:35]
	v_readfirstlane_b32 s20, v0
	v_readfirstlane_b32 s21, v1
	s_mov_b64 s[22:23], exec
	s_waitcnt vmcnt(1)
	v_readfirstlane_b32 s24, v6
	v_readfirstlane_b32 s25, v7
	s_and_b64 s[24:25], s[20:21], s[24:25]
	s_mul_i32 s29, s25, 24
	s_mul_hi_u32 s36, s24, 24
	s_mul_i32 s37, s24, 24
	s_add_i32 s29, s36, s29
	v_mov_b32_e32 v1, s29
	s_waitcnt vmcnt(0)
	v_add_co_u32_e32 v0, vcc, s37, v18
	v_addc_co_u32_e32 v1, vcc, v19, v1, vcc
	s_and_saveexec_b64 s[36:37], s[4:5]
	s_cbranch_execz .LBB2_900
; %bb.899:                              ;   in Loop: Header=BB2_445 Depth=1
	v_pk_mov_b32 v[6:7], s[22:23], s[22:23] op_sel:[0,1]
	global_store_dwordx4 v[0:1], v[6:9], off offset:8
.LBB2_900:                              ;   in Loop: Header=BB2_445 Depth=1
	s_or_b64 exec, exec, s[36:37]
	s_lshl_b64 s[22:23], s[24:25], 12
	v_mov_b32_e32 v2, s23
	v_add_co_u32_e32 v22, vcc, s22, v20
	v_addc_co_u32_e32 v23, vcc, v21, v2, vcc
	v_pk_mov_b32 v[26:27], s[10:11], s[10:11] op_sel:[0,1]
	v_mov_b32_e32 v5, v3
	v_mov_b32_e32 v6, v3
	;; [unrolled: 1-line block ×3, first 2 shown]
	v_readfirstlane_b32 s22, v22
	v_readfirstlane_b32 s23, v23
	v_pk_mov_b32 v[24:25], s[8:9], s[8:9] op_sel:[0,1]
	s_nop 3
	global_store_dwordx4 v42, v[4:7], s[22:23]
	global_store_dwordx4 v42, v[24:27], s[22:23] offset:16
	global_store_dwordx4 v42, v[24:27], s[22:23] offset:32
	;; [unrolled: 1-line block ×3, first 2 shown]
	s_and_saveexec_b64 s[22:23], s[4:5]
	s_cbranch_execz .LBB2_908
; %bb.901:                              ;   in Loop: Header=BB2_445 Depth=1
	global_load_dwordx2 v[26:27], v3, s[34:35] offset:32 glc
	global_load_dwordx2 v[6:7], v3, s[34:35] offset:40
	v_mov_b32_e32 v24, s20
	v_mov_b32_e32 v25, s21
	s_waitcnt vmcnt(0)
	v_readfirstlane_b32 s24, v6
	v_readfirstlane_b32 s25, v7
	s_and_b64 s[24:25], s[24:25], s[20:21]
	s_mul_i32 s25, s25, 24
	s_mul_hi_u32 s29, s24, 24
	s_mul_i32 s24, s24, 24
	s_add_i32 s25, s29, s25
	v_mov_b32_e32 v2, s25
	v_add_co_u32_e32 v6, vcc, s24, v18
	v_addc_co_u32_e32 v7, vcc, v19, v2, vcc
	global_store_dwordx2 v[6:7], v[26:27], off
	buffer_wbl2
	s_waitcnt vmcnt(0)
	global_atomic_cmpswap_x2 v[20:21], v3, v[24:27], s[34:35] offset:32 glc
	s_waitcnt vmcnt(0)
	v_cmp_ne_u64_e32 vcc, v[20:21], v[26:27]
	s_and_saveexec_b64 s[24:25], vcc
	s_cbranch_execz .LBB2_904
; %bb.902:                              ;   in Loop: Header=BB2_445 Depth=1
	s_mov_b64 s[36:37], 0
.LBB2_903:                              ;   Parent Loop BB2_445 Depth=1
                                        ; =>  This Inner Loop Header: Depth=2
	s_sleep 1
	global_store_dwordx2 v[6:7], v[20:21], off
	v_mov_b32_e32 v18, s20
	v_mov_b32_e32 v19, s21
	buffer_wbl2
	s_waitcnt vmcnt(0)
	global_atomic_cmpswap_x2 v[18:19], v3, v[18:21], s[34:35] offset:32 glc
	s_waitcnt vmcnt(0)
	v_cmp_eq_u64_e32 vcc, v[18:19], v[20:21]
	s_or_b64 s[36:37], vcc, s[36:37]
	v_pk_mov_b32 v[20:21], v[18:19], v[18:19] op_sel:[0,1]
	s_andn2_b64 exec, exec, s[36:37]
	s_cbranch_execnz .LBB2_903
.LBB2_904:                              ;   in Loop: Header=BB2_445 Depth=1
	s_or_b64 exec, exec, s[24:25]
	global_load_dwordx2 v[6:7], v3, s[34:35] offset:16
	s_mov_b64 s[36:37], exec
	v_mbcnt_lo_u32_b32 v2, s36, 0
	v_mbcnt_hi_u32_b32 v2, s37, v2
	v_cmp_eq_u32_e32 vcc, 0, v2
	s_and_saveexec_b64 s[24:25], vcc
	s_cbranch_execz .LBB2_906
; %bb.905:                              ;   in Loop: Header=BB2_445 Depth=1
	s_bcnt1_i32_b64 s29, s[36:37]
	v_mov_b32_e32 v2, s29
	buffer_wbl2
	s_waitcnt vmcnt(0)
	global_atomic_add_x2 v[6:7], v[2:3], off offset:8
.LBB2_906:                              ;   in Loop: Header=BB2_445 Depth=1
	s_or_b64 exec, exec, s[24:25]
	s_waitcnt vmcnt(0)
	global_load_dwordx2 v[18:19], v[6:7], off offset:16
	s_waitcnt vmcnt(0)
	v_cmp_eq_u64_e32 vcc, 0, v[18:19]
	s_cbranch_vccnz .LBB2_908
; %bb.907:                              ;   in Loop: Header=BB2_445 Depth=1
	global_load_dword v2, v[6:7], off offset:24
	buffer_wbl2
	s_waitcnt vmcnt(0)
	global_store_dwordx2 v[18:19], v[2:3], off
	v_and_b32_e32 v2, 0xffffff, v2
	v_readfirstlane_b32 m0, v2
	s_sendmsg sendmsg(MSG_INTERRUPT)
.LBB2_908:                              ;   in Loop: Header=BB2_445 Depth=1
	s_or_b64 exec, exec, s[22:23]
	v_add_co_u32_e32 v6, vcc, v22, v42
	v_addc_co_u32_e32 v7, vcc, 0, v23, vcc
	s_branch .LBB2_912
.LBB2_909:                              ;   in Loop: Header=BB2_912 Depth=2
	s_or_b64 exec, exec, s[22:23]
	v_readfirstlane_b32 s22, v2
	s_cmp_eq_u32 s22, 0
	s_cbranch_scc1 .LBB2_911
; %bb.910:                              ;   in Loop: Header=BB2_912 Depth=2
	s_sleep 1
	s_cbranch_execnz .LBB2_912
	s_branch .LBB2_914
.LBB2_911:                              ;   in Loop: Header=BB2_445 Depth=1
	s_branch .LBB2_914
.LBB2_912:                              ;   Parent Loop BB2_445 Depth=1
                                        ; =>  This Inner Loop Header: Depth=2
	v_mov_b32_e32 v2, 1
	s_and_saveexec_b64 s[22:23], s[4:5]
	s_cbranch_execz .LBB2_909
; %bb.913:                              ;   in Loop: Header=BB2_912 Depth=2
	global_load_dword v2, v[0:1], off offset:20 glc
	s_waitcnt vmcnt(0)
	buffer_invl2
	buffer_wbinvl1_vol
	v_and_b32_e32 v2, 1, v2
	s_branch .LBB2_909
.LBB2_914:                              ;   in Loop: Header=BB2_445 Depth=1
	global_load_dwordx2 v[0:1], v[6:7], off
	s_and_saveexec_b64 s[22:23], s[4:5]
	s_cbranch_execz .LBB2_918
; %bb.915:                              ;   in Loop: Header=BB2_445 Depth=1
	global_load_dwordx2 v[6:7], v3, s[34:35] offset:40
	global_load_dwordx2 v[22:23], v3, s[34:35] offset:24 glc
	global_load_dwordx2 v[24:25], v3, s[34:35]
	v_mov_b32_e32 v2, s21
	s_waitcnt vmcnt(2)
	v_add_co_u32_e32 v5, vcc, 1, v6
	v_addc_co_u32_e32 v21, vcc, 0, v7, vcc
	v_add_co_u32_e32 v18, vcc, s20, v5
	v_addc_co_u32_e32 v19, vcc, v21, v2, vcc
	v_cmp_eq_u64_e32 vcc, 0, v[18:19]
	v_cndmask_b32_e32 v19, v19, v21, vcc
	v_cndmask_b32_e32 v18, v18, v5, vcc
	v_and_b32_e32 v2, v19, v7
	v_and_b32_e32 v5, v18, v6
	v_mul_lo_u32 v2, v2, 24
	v_mul_hi_u32 v6, v5, 24
	v_mul_lo_u32 v5, v5, 24
	v_add_u32_e32 v2, v6, v2
	s_waitcnt vmcnt(0)
	v_add_co_u32_e32 v6, vcc, v24, v5
	v_addc_co_u32_e32 v7, vcc, v25, v2, vcc
	v_mov_b32_e32 v20, v22
	global_store_dwordx2 v[6:7], v[22:23], off
	v_mov_b32_e32 v21, v23
	buffer_wbl2
	s_waitcnt vmcnt(0)
	global_atomic_cmpswap_x2 v[20:21], v3, v[18:21], s[34:35] offset:24 glc
	s_waitcnt vmcnt(0)
	v_cmp_ne_u64_e32 vcc, v[20:21], v[22:23]
	s_and_b64 exec, exec, vcc
	s_cbranch_execz .LBB2_918
; %bb.916:                              ;   in Loop: Header=BB2_445 Depth=1
	s_mov_b64 s[4:5], 0
.LBB2_917:                              ;   Parent Loop BB2_445 Depth=1
                                        ; =>  This Inner Loop Header: Depth=2
	s_sleep 1
	global_store_dwordx2 v[6:7], v[20:21], off
	buffer_wbl2
	s_waitcnt vmcnt(0)
	global_atomic_cmpswap_x2 v[22:23], v3, v[18:21], s[34:35] offset:24 glc
	s_waitcnt vmcnt(0)
	v_cmp_eq_u64_e32 vcc, v[22:23], v[20:21]
	s_or_b64 s[4:5], vcc, s[4:5]
	v_pk_mov_b32 v[20:21], v[22:23], v[22:23] op_sel:[0,1]
	s_andn2_b64 exec, exec, s[4:5]
	s_cbranch_execnz .LBB2_917
.LBB2_918:                              ;   in Loop: Header=BB2_445 Depth=1
	s_or_b64 exec, exec, s[22:23]
	s_and_b64 vcc, exec, s[18:19]
	s_cbranch_vccz .LBB2_1003
; %bb.919:                              ;   in Loop: Header=BB2_445 Depth=1
	s_waitcnt vmcnt(0)
	v_and_b32_e32 v38, 2, v0
	v_and_b32_e32 v18, -3, v0
	v_mov_b32_e32 v19, v1
	s_mov_b64 s[22:23], 6
	s_getpc_b64 s[20:21]
	s_add_u32 s20, s20, .str.5@rel32@lo+4
	s_addc_u32 s21, s21, .str.5@rel32@hi+12
	s_branch .LBB2_921
.LBB2_920:                              ;   in Loop: Header=BB2_921 Depth=2
	s_or_b64 exec, exec, s[38:39]
	s_sub_u32 s22, s22, s24
	s_subb_u32 s23, s23, s25
	s_add_u32 s20, s20, s24
	s_addc_u32 s21, s21, s25
	s_cmp_lg_u64 s[22:23], 0
	s_cbranch_scc0 .LBB2_1002
.LBB2_921:                              ;   Parent Loop BB2_445 Depth=1
                                        ; =>  This Loop Header: Depth=2
                                        ;       Child Loop BB2_924 Depth 3
                                        ;       Child Loop BB2_931 Depth 3
	;; [unrolled: 1-line block ×11, first 2 shown]
	v_cmp_lt_u64_e64 s[4:5], s[22:23], 56
	s_and_b64 s[4:5], s[4:5], exec
	v_cmp_gt_u64_e64 s[4:5], s[22:23], 7
	s_cselect_b32 s25, s23, 0
	s_cselect_b32 s24, s22, 56
	s_and_b64 vcc, exec, s[4:5]
	s_cbranch_vccnz .LBB2_926
; %bb.922:                              ;   in Loop: Header=BB2_921 Depth=2
	s_mov_b64 s[4:5], 0
	s_cmp_eq_u64 s[22:23], 0
	s_waitcnt vmcnt(0)
	v_pk_mov_b32 v[20:21], 0, 0
	s_cbranch_scc1 .LBB2_925
; %bb.923:                              ;   in Loop: Header=BB2_921 Depth=2
	s_lshl_b64 s[36:37], s[24:25], 3
	s_mov_b64 s[38:39], 0
	v_pk_mov_b32 v[20:21], 0, 0
	s_mov_b64 s[40:41], s[20:21]
.LBB2_924:                              ;   Parent Loop BB2_445 Depth=1
                                        ;     Parent Loop BB2_921 Depth=2
                                        ; =>    This Inner Loop Header: Depth=3
	global_load_ubyte v2, v3, s[40:41]
	s_waitcnt vmcnt(0)
	v_and_b32_e32 v2, 0xffff, v2
	v_lshlrev_b64 v[6:7], s38, v[2:3]
	s_add_u32 s38, s38, 8
	s_addc_u32 s39, s39, 0
	s_add_u32 s40, s40, 1
	s_addc_u32 s41, s41, 0
	v_or_b32_e32 v20, v6, v20
	s_cmp_lg_u32 s36, s38
	v_or_b32_e32 v21, v7, v21
	s_cbranch_scc1 .LBB2_924
.LBB2_925:                              ;   in Loop: Header=BB2_921 Depth=2
	s_mov_b32 s29, 0
	s_andn2_b64 vcc, exec, s[4:5]
	s_mov_b64 s[4:5], s[20:21]
	s_cbranch_vccz .LBB2_927
	s_branch .LBB2_928
.LBB2_926:                              ;   in Loop: Header=BB2_921 Depth=2
                                        ; implicit-def: $vgpr20_vgpr21
                                        ; implicit-def: $sgpr29
	s_mov_b64 s[4:5], s[20:21]
.LBB2_927:                              ;   in Loop: Header=BB2_921 Depth=2
	global_load_dwordx2 v[20:21], v3, s[20:21]
	s_add_i32 s29, s24, -8
	s_add_u32 s4, s20, 8
	s_addc_u32 s5, s21, 0
.LBB2_928:                              ;   in Loop: Header=BB2_921 Depth=2
	s_cmp_gt_u32 s29, 7
	s_cbranch_scc1 .LBB2_932
; %bb.929:                              ;   in Loop: Header=BB2_921 Depth=2
	s_cmp_eq_u32 s29, 0
	s_cbranch_scc1 .LBB2_933
; %bb.930:                              ;   in Loop: Header=BB2_921 Depth=2
	s_mov_b64 s[36:37], 0
	v_pk_mov_b32 v[22:23], 0, 0
	s_mov_b64 s[38:39], 0
.LBB2_931:                              ;   Parent Loop BB2_445 Depth=1
                                        ;     Parent Loop BB2_921 Depth=2
                                        ; =>    This Inner Loop Header: Depth=3
	s_add_u32 s40, s4, s38
	s_addc_u32 s41, s5, s39
	global_load_ubyte v2, v3, s[40:41]
	s_add_u32 s38, s38, 1
	s_addc_u32 s39, s39, 0
	s_waitcnt vmcnt(0)
	v_and_b32_e32 v2, 0xffff, v2
	v_lshlrev_b64 v[6:7], s36, v[2:3]
	s_add_u32 s36, s36, 8
	s_addc_u32 s37, s37, 0
	v_or_b32_e32 v22, v6, v22
	s_cmp_lg_u32 s29, s38
	v_or_b32_e32 v23, v7, v23
	s_cbranch_scc1 .LBB2_931
	s_branch .LBB2_934
.LBB2_932:                              ;   in Loop: Header=BB2_921 Depth=2
                                        ; implicit-def: $vgpr22_vgpr23
                                        ; implicit-def: $sgpr40
	s_branch .LBB2_935
.LBB2_933:                              ;   in Loop: Header=BB2_921 Depth=2
	v_pk_mov_b32 v[22:23], 0, 0
.LBB2_934:                              ;   in Loop: Header=BB2_921 Depth=2
	s_mov_b32 s40, 0
	s_cbranch_execnz .LBB2_936
.LBB2_935:                              ;   in Loop: Header=BB2_921 Depth=2
	global_load_dwordx2 v[22:23], v3, s[4:5]
	s_add_i32 s40, s29, -8
	s_add_u32 s4, s4, 8
	s_addc_u32 s5, s5, 0
.LBB2_936:                              ;   in Loop: Header=BB2_921 Depth=2
	s_cmp_gt_u32 s40, 7
	s_cbranch_scc1 .LBB2_940
; %bb.937:                              ;   in Loop: Header=BB2_921 Depth=2
	s_cmp_eq_u32 s40, 0
	s_cbranch_scc1 .LBB2_941
; %bb.938:                              ;   in Loop: Header=BB2_921 Depth=2
	s_mov_b64 s[36:37], 0
	v_pk_mov_b32 v[24:25], 0, 0
	s_mov_b64 s[38:39], 0
.LBB2_939:                              ;   Parent Loop BB2_445 Depth=1
                                        ;     Parent Loop BB2_921 Depth=2
                                        ; =>    This Inner Loop Header: Depth=3
	s_add_u32 s42, s4, s38
	s_addc_u32 s43, s5, s39
	global_load_ubyte v2, v3, s[42:43]
	s_add_u32 s38, s38, 1
	s_addc_u32 s39, s39, 0
	s_waitcnt vmcnt(0)
	v_and_b32_e32 v2, 0xffff, v2
	v_lshlrev_b64 v[6:7], s36, v[2:3]
	s_add_u32 s36, s36, 8
	s_addc_u32 s37, s37, 0
	v_or_b32_e32 v24, v6, v24
	s_cmp_lg_u32 s40, s38
	v_or_b32_e32 v25, v7, v25
	s_cbranch_scc1 .LBB2_939
	s_branch .LBB2_942
.LBB2_940:                              ;   in Loop: Header=BB2_921 Depth=2
                                        ; implicit-def: $sgpr29
	s_branch .LBB2_943
.LBB2_941:                              ;   in Loop: Header=BB2_921 Depth=2
	v_pk_mov_b32 v[24:25], 0, 0
.LBB2_942:                              ;   in Loop: Header=BB2_921 Depth=2
	s_mov_b32 s29, 0
	s_cbranch_execnz .LBB2_944
.LBB2_943:                              ;   in Loop: Header=BB2_921 Depth=2
	global_load_dwordx2 v[24:25], v3, s[4:5]
	s_add_i32 s29, s40, -8
	s_add_u32 s4, s4, 8
	s_addc_u32 s5, s5, 0
.LBB2_944:                              ;   in Loop: Header=BB2_921 Depth=2
	s_cmp_gt_u32 s29, 7
	s_cbranch_scc1 .LBB2_948
; %bb.945:                              ;   in Loop: Header=BB2_921 Depth=2
	s_cmp_eq_u32 s29, 0
	s_cbranch_scc1 .LBB2_949
; %bb.946:                              ;   in Loop: Header=BB2_921 Depth=2
	s_mov_b64 s[36:37], 0
	v_pk_mov_b32 v[26:27], 0, 0
	s_mov_b64 s[38:39], 0
.LBB2_947:                              ;   Parent Loop BB2_445 Depth=1
                                        ;     Parent Loop BB2_921 Depth=2
                                        ; =>    This Inner Loop Header: Depth=3
	s_add_u32 s40, s4, s38
	s_addc_u32 s41, s5, s39
	global_load_ubyte v2, v3, s[40:41]
	s_add_u32 s38, s38, 1
	s_addc_u32 s39, s39, 0
	s_waitcnt vmcnt(0)
	v_and_b32_e32 v2, 0xffff, v2
	v_lshlrev_b64 v[6:7], s36, v[2:3]
	s_add_u32 s36, s36, 8
	s_addc_u32 s37, s37, 0
	v_or_b32_e32 v26, v6, v26
	s_cmp_lg_u32 s29, s38
	v_or_b32_e32 v27, v7, v27
	s_cbranch_scc1 .LBB2_947
	s_branch .LBB2_950
.LBB2_948:                              ;   in Loop: Header=BB2_921 Depth=2
                                        ; implicit-def: $vgpr26_vgpr27
                                        ; implicit-def: $sgpr40
	s_branch .LBB2_951
.LBB2_949:                              ;   in Loop: Header=BB2_921 Depth=2
	v_pk_mov_b32 v[26:27], 0, 0
.LBB2_950:                              ;   in Loop: Header=BB2_921 Depth=2
	s_mov_b32 s40, 0
	s_cbranch_execnz .LBB2_952
.LBB2_951:                              ;   in Loop: Header=BB2_921 Depth=2
	global_load_dwordx2 v[26:27], v3, s[4:5]
	s_add_i32 s40, s29, -8
	s_add_u32 s4, s4, 8
	s_addc_u32 s5, s5, 0
.LBB2_952:                              ;   in Loop: Header=BB2_921 Depth=2
	s_cmp_gt_u32 s40, 7
	s_cbranch_scc1 .LBB2_956
; %bb.953:                              ;   in Loop: Header=BB2_921 Depth=2
	s_cmp_eq_u32 s40, 0
	s_cbranch_scc1 .LBB2_957
; %bb.954:                              ;   in Loop: Header=BB2_921 Depth=2
	s_mov_b64 s[36:37], 0
	v_pk_mov_b32 v[28:29], 0, 0
	s_mov_b64 s[38:39], 0
.LBB2_955:                              ;   Parent Loop BB2_445 Depth=1
                                        ;     Parent Loop BB2_921 Depth=2
                                        ; =>    This Inner Loop Header: Depth=3
	s_add_u32 s42, s4, s38
	s_addc_u32 s43, s5, s39
	global_load_ubyte v2, v3, s[42:43]
	s_add_u32 s38, s38, 1
	s_addc_u32 s39, s39, 0
	s_waitcnt vmcnt(0)
	v_and_b32_e32 v2, 0xffff, v2
	v_lshlrev_b64 v[6:7], s36, v[2:3]
	s_add_u32 s36, s36, 8
	s_addc_u32 s37, s37, 0
	v_or_b32_e32 v28, v6, v28
	s_cmp_lg_u32 s40, s38
	v_or_b32_e32 v29, v7, v29
	s_cbranch_scc1 .LBB2_955
	s_branch .LBB2_958
.LBB2_956:                              ;   in Loop: Header=BB2_921 Depth=2
                                        ; implicit-def: $sgpr29
	s_branch .LBB2_959
.LBB2_957:                              ;   in Loop: Header=BB2_921 Depth=2
	v_pk_mov_b32 v[28:29], 0, 0
.LBB2_958:                              ;   in Loop: Header=BB2_921 Depth=2
	s_mov_b32 s29, 0
	s_cbranch_execnz .LBB2_960
.LBB2_959:                              ;   in Loop: Header=BB2_921 Depth=2
	global_load_dwordx2 v[28:29], v3, s[4:5]
	s_add_i32 s29, s40, -8
	s_add_u32 s4, s4, 8
	s_addc_u32 s5, s5, 0
.LBB2_960:                              ;   in Loop: Header=BB2_921 Depth=2
	s_cmp_gt_u32 s29, 7
	s_cbranch_scc1 .LBB2_964
; %bb.961:                              ;   in Loop: Header=BB2_921 Depth=2
	s_cmp_eq_u32 s29, 0
	s_cbranch_scc1 .LBB2_965
; %bb.962:                              ;   in Loop: Header=BB2_921 Depth=2
	s_mov_b64 s[36:37], 0
	v_pk_mov_b32 v[30:31], 0, 0
	s_mov_b64 s[38:39], 0
.LBB2_963:                              ;   Parent Loop BB2_445 Depth=1
                                        ;     Parent Loop BB2_921 Depth=2
                                        ; =>    This Inner Loop Header: Depth=3
	s_add_u32 s40, s4, s38
	s_addc_u32 s41, s5, s39
	global_load_ubyte v2, v3, s[40:41]
	s_add_u32 s38, s38, 1
	s_addc_u32 s39, s39, 0
	s_waitcnt vmcnt(0)
	v_and_b32_e32 v2, 0xffff, v2
	v_lshlrev_b64 v[6:7], s36, v[2:3]
	s_add_u32 s36, s36, 8
	s_addc_u32 s37, s37, 0
	v_or_b32_e32 v30, v6, v30
	s_cmp_lg_u32 s29, s38
	v_or_b32_e32 v31, v7, v31
	s_cbranch_scc1 .LBB2_963
	s_branch .LBB2_966
.LBB2_964:                              ;   in Loop: Header=BB2_921 Depth=2
                                        ; implicit-def: $vgpr30_vgpr31
                                        ; implicit-def: $sgpr40
	s_branch .LBB2_967
.LBB2_965:                              ;   in Loop: Header=BB2_921 Depth=2
	v_pk_mov_b32 v[30:31], 0, 0
.LBB2_966:                              ;   in Loop: Header=BB2_921 Depth=2
	s_mov_b32 s40, 0
	s_cbranch_execnz .LBB2_968
.LBB2_967:                              ;   in Loop: Header=BB2_921 Depth=2
	global_load_dwordx2 v[30:31], v3, s[4:5]
	s_add_i32 s40, s29, -8
	s_add_u32 s4, s4, 8
	s_addc_u32 s5, s5, 0
.LBB2_968:                              ;   in Loop: Header=BB2_921 Depth=2
	s_cmp_gt_u32 s40, 7
	s_cbranch_scc1 .LBB2_972
; %bb.969:                              ;   in Loop: Header=BB2_921 Depth=2
	s_cmp_eq_u32 s40, 0
	s_cbranch_scc1 .LBB2_973
; %bb.970:                              ;   in Loop: Header=BB2_921 Depth=2
	s_mov_b64 s[36:37], 0
	v_pk_mov_b32 v[32:33], 0, 0
	s_mov_b64 s[38:39], s[4:5]
.LBB2_971:                              ;   Parent Loop BB2_445 Depth=1
                                        ;     Parent Loop BB2_921 Depth=2
                                        ; =>    This Inner Loop Header: Depth=3
	global_load_ubyte v2, v3, s[38:39]
	s_add_i32 s40, s40, -1
	s_waitcnt vmcnt(0)
	v_and_b32_e32 v2, 0xffff, v2
	v_lshlrev_b64 v[6:7], s36, v[2:3]
	s_add_u32 s36, s36, 8
	s_addc_u32 s37, s37, 0
	s_add_u32 s38, s38, 1
	s_addc_u32 s39, s39, 0
	v_or_b32_e32 v32, v6, v32
	s_cmp_lg_u32 s40, 0
	v_or_b32_e32 v33, v7, v33
	s_cbranch_scc1 .LBB2_971
	s_branch .LBB2_974
.LBB2_972:                              ;   in Loop: Header=BB2_921 Depth=2
	s_branch .LBB2_975
.LBB2_973:                              ;   in Loop: Header=BB2_921 Depth=2
	v_pk_mov_b32 v[32:33], 0, 0
.LBB2_974:                              ;   in Loop: Header=BB2_921 Depth=2
	s_cbranch_execnz .LBB2_976
.LBB2_975:                              ;   in Loop: Header=BB2_921 Depth=2
	global_load_dwordx2 v[32:33], v3, s[4:5]
.LBB2_976:                              ;   in Loop: Header=BB2_921 Depth=2
	v_readfirstlane_b32 s4, v43
	v_cmp_eq_u32_e64 s[4:5], s4, v43
	v_pk_mov_b32 v[6:7], 0, 0
	s_and_saveexec_b64 s[36:37], s[4:5]
	s_cbranch_execz .LBB2_982
; %bb.977:                              ;   in Loop: Header=BB2_921 Depth=2
	global_load_dwordx2 v[36:37], v3, s[34:35] offset:24 glc
	s_waitcnt vmcnt(0)
	buffer_invl2
	buffer_wbinvl1_vol
	global_load_dwordx2 v[6:7], v3, s[34:35] offset:40
	global_load_dwordx2 v[34:35], v3, s[34:35]
	s_waitcnt vmcnt(1)
	v_and_b32_e32 v2, v6, v36
	v_and_b32_e32 v5, v7, v37
	v_mul_lo_u32 v5, v5, 24
	v_mul_hi_u32 v6, v2, 24
	v_mul_lo_u32 v2, v2, 24
	v_add_u32_e32 v5, v6, v5
	s_waitcnt vmcnt(0)
	v_add_co_u32_e32 v6, vcc, v34, v2
	v_addc_co_u32_e32 v7, vcc, v35, v5, vcc
	global_load_dwordx2 v[34:35], v[6:7], off glc
	s_waitcnt vmcnt(0)
	global_atomic_cmpswap_x2 v[6:7], v3, v[34:37], s[34:35] offset:24 glc
	s_waitcnt vmcnt(0)
	buffer_invl2
	buffer_wbinvl1_vol
	v_cmp_ne_u64_e32 vcc, v[6:7], v[36:37]
	s_and_saveexec_b64 s[38:39], vcc
	s_cbranch_execz .LBB2_981
; %bb.978:                              ;   in Loop: Header=BB2_921 Depth=2
	s_mov_b64 s[40:41], 0
.LBB2_979:                              ;   Parent Loop BB2_445 Depth=1
                                        ;     Parent Loop BB2_921 Depth=2
                                        ; =>    This Inner Loop Header: Depth=3
	s_sleep 1
	global_load_dwordx2 v[34:35], v3, s[34:35] offset:40
	global_load_dwordx2 v[40:41], v3, s[34:35]
	v_pk_mov_b32 v[36:37], v[6:7], v[6:7] op_sel:[0,1]
	s_waitcnt vmcnt(1)
	v_and_b32_e32 v2, v34, v36
	s_waitcnt vmcnt(0)
	v_mad_u64_u32 v[6:7], s[42:43], v2, 24, v[40:41]
	v_and_b32_e32 v5, v35, v37
	v_mov_b32_e32 v2, v7
	v_mad_u64_u32 v[34:35], s[42:43], v5, 24, v[2:3]
	v_mov_b32_e32 v7, v34
	global_load_dwordx2 v[34:35], v[6:7], off glc
	s_waitcnt vmcnt(0)
	global_atomic_cmpswap_x2 v[6:7], v3, v[34:37], s[34:35] offset:24 glc
	s_waitcnt vmcnt(0)
	buffer_invl2
	buffer_wbinvl1_vol
	v_cmp_eq_u64_e32 vcc, v[6:7], v[36:37]
	s_or_b64 s[40:41], vcc, s[40:41]
	s_andn2_b64 exec, exec, s[40:41]
	s_cbranch_execnz .LBB2_979
; %bb.980:                              ;   in Loop: Header=BB2_921 Depth=2
	s_or_b64 exec, exec, s[40:41]
.LBB2_981:                              ;   in Loop: Header=BB2_921 Depth=2
	s_or_b64 exec, exec, s[38:39]
.LBB2_982:                              ;   in Loop: Header=BB2_921 Depth=2
	s_or_b64 exec, exec, s[36:37]
	global_load_dwordx2 v[40:41], v3, s[34:35] offset:40
	global_load_dwordx4 v[34:37], v3, s[34:35]
	v_readfirstlane_b32 s36, v6
	v_readfirstlane_b32 s37, v7
	s_mov_b64 s[38:39], exec
	s_waitcnt vmcnt(1)
	v_readfirstlane_b32 s40, v40
	v_readfirstlane_b32 s41, v41
	s_and_b64 s[40:41], s[36:37], s[40:41]
	s_mul_i32 s29, s41, 24
	s_mul_hi_u32 s42, s40, 24
	s_mul_i32 s43, s40, 24
	s_add_i32 s29, s42, s29
	v_mov_b32_e32 v2, s29
	s_waitcnt vmcnt(0)
	v_add_co_u32_e32 v40, vcc, s43, v34
	v_addc_co_u32_e32 v41, vcc, v35, v2, vcc
	s_and_saveexec_b64 s[42:43], s[4:5]
	s_cbranch_execz .LBB2_984
; %bb.983:                              ;   in Loop: Header=BB2_921 Depth=2
	v_pk_mov_b32 v[6:7], s[38:39], s[38:39] op_sel:[0,1]
	global_store_dwordx4 v[40:41], v[6:9], off offset:8
.LBB2_984:                              ;   in Loop: Header=BB2_921 Depth=2
	s_or_b64 exec, exec, s[42:43]
	s_lshl_b64 s[38:39], s[40:41], 12
	v_mov_b32_e32 v2, s39
	v_add_co_u32_e32 v6, vcc, s38, v36
	v_addc_co_u32_e32 v5, vcc, v37, v2, vcc
	v_or_b32_e32 v2, 0, v19
	v_or_b32_e32 v7, v18, v38
	v_cmp_gt_u64_e64 vcc, s[22:23], 56
	s_lshl_b32 s29, s24, 2
	v_cndmask_b32_e32 v19, v2, v19, vcc
	v_cndmask_b32_e32 v2, v7, v18, vcc
	s_add_i32 s29, s29, 28
	s_and_b32 s29, s29, 0x1e0
	v_and_b32_e32 v2, 0xffffff1f, v2
	v_or_b32_e32 v18, s29, v2
	v_readfirstlane_b32 s38, v6
	v_readfirstlane_b32 s39, v5
	s_nop 4
	global_store_dwordx4 v42, v[18:21], s[38:39]
	global_store_dwordx4 v42, v[22:25], s[38:39] offset:16
	global_store_dwordx4 v42, v[26:29], s[38:39] offset:32
	;; [unrolled: 1-line block ×3, first 2 shown]
	s_and_saveexec_b64 s[38:39], s[4:5]
	s_cbranch_execz .LBB2_992
; %bb.985:                              ;   in Loop: Header=BB2_921 Depth=2
	global_load_dwordx2 v[26:27], v3, s[34:35] offset:32 glc
	global_load_dwordx2 v[18:19], v3, s[34:35] offset:40
	v_mov_b32_e32 v24, s36
	v_mov_b32_e32 v25, s37
	s_waitcnt vmcnt(0)
	v_readfirstlane_b32 s40, v18
	v_readfirstlane_b32 s41, v19
	s_and_b64 s[40:41], s[40:41], s[36:37]
	s_mul_i32 s29, s41, 24
	s_mul_hi_u32 s41, s40, 24
	s_mul_i32 s40, s40, 24
	s_add_i32 s29, s41, s29
	v_mov_b32_e32 v2, s29
	v_add_co_u32_e32 v22, vcc, s40, v34
	v_addc_co_u32_e32 v23, vcc, v35, v2, vcc
	global_store_dwordx2 v[22:23], v[26:27], off
	buffer_wbl2
	s_waitcnt vmcnt(0)
	global_atomic_cmpswap_x2 v[20:21], v3, v[24:27], s[34:35] offset:32 glc
	s_waitcnt vmcnt(0)
	v_cmp_ne_u64_e32 vcc, v[20:21], v[26:27]
	s_and_saveexec_b64 s[40:41], vcc
	s_cbranch_execz .LBB2_988
; %bb.986:                              ;   in Loop: Header=BB2_921 Depth=2
	s_mov_b64 s[42:43], 0
.LBB2_987:                              ;   Parent Loop BB2_445 Depth=1
                                        ;     Parent Loop BB2_921 Depth=2
                                        ; =>    This Inner Loop Header: Depth=3
	s_sleep 1
	global_store_dwordx2 v[22:23], v[20:21], off
	v_mov_b32_e32 v18, s36
	v_mov_b32_e32 v19, s37
	buffer_wbl2
	s_waitcnt vmcnt(0)
	global_atomic_cmpswap_x2 v[18:19], v3, v[18:21], s[34:35] offset:32 glc
	s_waitcnt vmcnt(0)
	v_cmp_eq_u64_e32 vcc, v[18:19], v[20:21]
	s_or_b64 s[42:43], vcc, s[42:43]
	v_pk_mov_b32 v[20:21], v[18:19], v[18:19] op_sel:[0,1]
	s_andn2_b64 exec, exec, s[42:43]
	s_cbranch_execnz .LBB2_987
.LBB2_988:                              ;   in Loop: Header=BB2_921 Depth=2
	s_or_b64 exec, exec, s[40:41]
	global_load_dwordx2 v[18:19], v3, s[34:35] offset:16
	s_mov_b64 s[42:43], exec
	v_mbcnt_lo_u32_b32 v2, s42, 0
	v_mbcnt_hi_u32_b32 v2, s43, v2
	v_cmp_eq_u32_e32 vcc, 0, v2
	s_and_saveexec_b64 s[40:41], vcc
	s_cbranch_execz .LBB2_990
; %bb.989:                              ;   in Loop: Header=BB2_921 Depth=2
	s_bcnt1_i32_b64 s29, s[42:43]
	v_mov_b32_e32 v2, s29
	buffer_wbl2
	s_waitcnt vmcnt(0)
	global_atomic_add_x2 v[18:19], v[2:3], off offset:8
.LBB2_990:                              ;   in Loop: Header=BB2_921 Depth=2
	s_or_b64 exec, exec, s[40:41]
	s_waitcnt vmcnt(0)
	global_load_dwordx2 v[20:21], v[18:19], off offset:16
	s_waitcnt vmcnt(0)
	v_cmp_eq_u64_e32 vcc, 0, v[20:21]
	s_cbranch_vccnz .LBB2_992
; %bb.991:                              ;   in Loop: Header=BB2_921 Depth=2
	global_load_dword v2, v[18:19], off offset:24
	buffer_wbl2
	s_waitcnt vmcnt(0)
	global_store_dwordx2 v[20:21], v[2:3], off
	v_and_b32_e32 v2, 0xffffff, v2
	v_readfirstlane_b32 m0, v2
	s_sendmsg sendmsg(MSG_INTERRUPT)
.LBB2_992:                              ;   in Loop: Header=BB2_921 Depth=2
	s_or_b64 exec, exec, s[38:39]
	v_add_co_u32_e32 v6, vcc, v6, v42
	v_addc_co_u32_e32 v7, vcc, 0, v5, vcc
	s_branch .LBB2_996
.LBB2_993:                              ;   in Loop: Header=BB2_996 Depth=3
	s_or_b64 exec, exec, s[38:39]
	v_readfirstlane_b32 s29, v2
	s_cmp_eq_u32 s29, 0
	s_cbranch_scc1 .LBB2_995
; %bb.994:                              ;   in Loop: Header=BB2_996 Depth=3
	s_sleep 1
	s_cbranch_execnz .LBB2_996
	s_branch .LBB2_998
.LBB2_995:                              ;   in Loop: Header=BB2_921 Depth=2
	s_branch .LBB2_998
.LBB2_996:                              ;   Parent Loop BB2_445 Depth=1
                                        ;     Parent Loop BB2_921 Depth=2
                                        ; =>    This Inner Loop Header: Depth=3
	v_mov_b32_e32 v2, 1
	s_and_saveexec_b64 s[38:39], s[4:5]
	s_cbranch_execz .LBB2_993
; %bb.997:                              ;   in Loop: Header=BB2_996 Depth=3
	global_load_dword v2, v[40:41], off offset:20 glc
	s_waitcnt vmcnt(0)
	buffer_invl2
	buffer_wbinvl1_vol
	v_and_b32_e32 v2, 1, v2
	s_branch .LBB2_993
.LBB2_998:                              ;   in Loop: Header=BB2_921 Depth=2
	global_load_dwordx4 v[18:21], v[6:7], off
	s_and_saveexec_b64 s[38:39], s[4:5]
	s_cbranch_execz .LBB2_920
; %bb.999:                              ;   in Loop: Header=BB2_921 Depth=2
	global_load_dwordx2 v[6:7], v3, s[34:35] offset:40
	global_load_dwordx2 v[24:25], v3, s[34:35] offset:24 glc
	global_load_dwordx2 v[26:27], v3, s[34:35]
	v_mov_b32_e32 v2, s37
	s_waitcnt vmcnt(2)
	v_add_co_u32_e32 v5, vcc, 1, v6
	v_addc_co_u32_e32 v23, vcc, 0, v7, vcc
	v_add_co_u32_e32 v20, vcc, s36, v5
	v_addc_co_u32_e32 v21, vcc, v23, v2, vcc
	v_cmp_eq_u64_e32 vcc, 0, v[20:21]
	v_cndmask_b32_e32 v21, v21, v23, vcc
	v_cndmask_b32_e32 v20, v20, v5, vcc
	v_and_b32_e32 v2, v21, v7
	v_and_b32_e32 v5, v20, v6
	v_mul_lo_u32 v2, v2, 24
	v_mul_hi_u32 v6, v5, 24
	v_mul_lo_u32 v5, v5, 24
	v_add_u32_e32 v2, v6, v2
	s_waitcnt vmcnt(0)
	v_add_co_u32_e32 v6, vcc, v26, v5
	v_addc_co_u32_e32 v7, vcc, v27, v2, vcc
	v_mov_b32_e32 v22, v24
	global_store_dwordx2 v[6:7], v[24:25], off
	v_mov_b32_e32 v23, v25
	buffer_wbl2
	s_waitcnt vmcnt(0)
	global_atomic_cmpswap_x2 v[22:23], v3, v[20:23], s[34:35] offset:24 glc
	s_waitcnt vmcnt(0)
	v_cmp_ne_u64_e32 vcc, v[22:23], v[24:25]
	s_and_b64 exec, exec, vcc
	s_cbranch_execz .LBB2_920
; %bb.1000:                             ;   in Loop: Header=BB2_921 Depth=2
	s_mov_b64 s[4:5], 0
.LBB2_1001:                             ;   Parent Loop BB2_445 Depth=1
                                        ;     Parent Loop BB2_921 Depth=2
                                        ; =>    This Inner Loop Header: Depth=3
	s_sleep 1
	global_store_dwordx2 v[6:7], v[22:23], off
	buffer_wbl2
	s_waitcnt vmcnt(0)
	global_atomic_cmpswap_x2 v[24:25], v3, v[20:23], s[34:35] offset:24 glc
	s_waitcnt vmcnt(0)
	v_cmp_eq_u64_e32 vcc, v[24:25], v[22:23]
	s_or_b64 s[4:5], vcc, s[4:5]
	v_pk_mov_b32 v[22:23], v[24:25], v[24:25] op_sel:[0,1]
	s_andn2_b64 exec, exec, s[4:5]
	s_cbranch_execnz .LBB2_1001
	s_branch .LBB2_920
.LBB2_1002:                             ;   in Loop: Header=BB2_445 Depth=1
	s_branch .LBB2_1031
.LBB2_1003:                             ;   in Loop: Header=BB2_445 Depth=1
                                        ; implicit-def: $vgpr18_vgpr19
	s_cbranch_execz .LBB2_1031
; %bb.1004:                             ;   in Loop: Header=BB2_445 Depth=1
	v_readfirstlane_b32 s4, v43
	v_cmp_eq_u32_e64 s[4:5], s4, v43
	v_pk_mov_b32 v[6:7], 0, 0
	s_and_saveexec_b64 s[20:21], s[4:5]
	s_cbranch_execz .LBB2_1010
; %bb.1005:                             ;   in Loop: Header=BB2_445 Depth=1
	global_load_dwordx2 v[20:21], v3, s[34:35] offset:24 glc
	s_waitcnt vmcnt(0)
	buffer_invl2
	buffer_wbinvl1_vol
	global_load_dwordx2 v[6:7], v3, s[34:35] offset:40
	global_load_dwordx2 v[18:19], v3, s[34:35]
	s_waitcnt vmcnt(1)
	v_and_b32_e32 v2, v6, v20
	v_and_b32_e32 v5, v7, v21
	v_mul_lo_u32 v5, v5, 24
	v_mul_hi_u32 v6, v2, 24
	v_mul_lo_u32 v2, v2, 24
	v_add_u32_e32 v5, v6, v5
	s_waitcnt vmcnt(0)
	v_add_co_u32_e32 v6, vcc, v18, v2
	v_addc_co_u32_e32 v7, vcc, v19, v5, vcc
	global_load_dwordx2 v[18:19], v[6:7], off glc
	s_waitcnt vmcnt(0)
	global_atomic_cmpswap_x2 v[6:7], v3, v[18:21], s[34:35] offset:24 glc
	s_waitcnt vmcnt(0)
	buffer_invl2
	buffer_wbinvl1_vol
	v_cmp_ne_u64_e32 vcc, v[6:7], v[20:21]
	s_and_saveexec_b64 s[22:23], vcc
	s_cbranch_execz .LBB2_1009
; %bb.1006:                             ;   in Loop: Header=BB2_445 Depth=1
	s_mov_b64 s[24:25], 0
.LBB2_1007:                             ;   Parent Loop BB2_445 Depth=1
                                        ; =>  This Inner Loop Header: Depth=2
	s_sleep 1
	global_load_dwordx2 v[18:19], v3, s[34:35] offset:40
	global_load_dwordx2 v[22:23], v3, s[34:35]
	v_pk_mov_b32 v[20:21], v[6:7], v[6:7] op_sel:[0,1]
	s_waitcnt vmcnt(1)
	v_and_b32_e32 v2, v18, v20
	s_waitcnt vmcnt(0)
	v_mad_u64_u32 v[6:7], s[36:37], v2, 24, v[22:23]
	v_and_b32_e32 v5, v19, v21
	v_mov_b32_e32 v2, v7
	v_mad_u64_u32 v[18:19], s[36:37], v5, 24, v[2:3]
	v_mov_b32_e32 v7, v18
	global_load_dwordx2 v[18:19], v[6:7], off glc
	s_waitcnt vmcnt(0)
	global_atomic_cmpswap_x2 v[6:7], v3, v[18:21], s[34:35] offset:24 glc
	s_waitcnt vmcnt(0)
	buffer_invl2
	buffer_wbinvl1_vol
	v_cmp_eq_u64_e32 vcc, v[6:7], v[20:21]
	s_or_b64 s[24:25], vcc, s[24:25]
	s_andn2_b64 exec, exec, s[24:25]
	s_cbranch_execnz .LBB2_1007
; %bb.1008:                             ;   in Loop: Header=BB2_445 Depth=1
	s_or_b64 exec, exec, s[24:25]
.LBB2_1009:                             ;   in Loop: Header=BB2_445 Depth=1
	s_or_b64 exec, exec, s[22:23]
.LBB2_1010:                             ;   in Loop: Header=BB2_445 Depth=1
	s_or_b64 exec, exec, s[20:21]
	global_load_dwordx2 v[22:23], v3, s[34:35] offset:40
	global_load_dwordx4 v[18:21], v3, s[34:35]
	v_readfirstlane_b32 s20, v6
	v_readfirstlane_b32 s21, v7
	s_mov_b64 s[22:23], exec
	s_waitcnt vmcnt(1)
	v_readfirstlane_b32 s24, v22
	v_readfirstlane_b32 s25, v23
	s_and_b64 s[24:25], s[20:21], s[24:25]
	s_mul_i32 s29, s25, 24
	s_mul_hi_u32 s36, s24, 24
	s_mul_i32 s37, s24, 24
	s_add_i32 s29, s36, s29
	v_mov_b32_e32 v2, s29
	s_waitcnt vmcnt(0)
	v_add_co_u32_e32 v22, vcc, s37, v18
	v_addc_co_u32_e32 v23, vcc, v19, v2, vcc
	s_and_saveexec_b64 s[36:37], s[4:5]
	s_cbranch_execz .LBB2_1012
; %bb.1011:                             ;   in Loop: Header=BB2_445 Depth=1
	v_pk_mov_b32 v[6:7], s[22:23], s[22:23] op_sel:[0,1]
	global_store_dwordx4 v[22:23], v[6:9], off offset:8
.LBB2_1012:                             ;   in Loop: Header=BB2_445 Depth=1
	s_or_b64 exec, exec, s[36:37]
	s_lshl_b64 s[22:23], s[24:25], 12
	v_mov_b32_e32 v2, s23
	v_add_co_u32_e32 v6, vcc, s22, v20
	v_addc_co_u32_e32 v5, vcc, v21, v2, vcc
	v_pk_mov_b32 v[26:27], s[10:11], s[10:11] op_sel:[0,1]
	v_and_or_b32 v0, v0, s47, 32
	v_mov_b32_e32 v2, v3
	v_readfirstlane_b32 s22, v6
	v_readfirstlane_b32 s23, v5
	v_pk_mov_b32 v[24:25], s[8:9], s[8:9] op_sel:[0,1]
	s_nop 3
	global_store_dwordx4 v42, v[0:3], s[22:23]
	global_store_dwordx4 v42, v[24:27], s[22:23] offset:16
	global_store_dwordx4 v42, v[24:27], s[22:23] offset:32
	;; [unrolled: 1-line block ×3, first 2 shown]
	s_and_saveexec_b64 s[22:23], s[4:5]
	s_cbranch_execz .LBB2_1020
; %bb.1013:                             ;   in Loop: Header=BB2_445 Depth=1
	global_load_dwordx2 v[26:27], v3, s[34:35] offset:32 glc
	global_load_dwordx2 v[0:1], v3, s[34:35] offset:40
	v_mov_b32_e32 v24, s20
	v_mov_b32_e32 v25, s21
	s_waitcnt vmcnt(0)
	v_readfirstlane_b32 s24, v0
	v_readfirstlane_b32 s25, v1
	s_and_b64 s[24:25], s[24:25], s[20:21]
	s_mul_i32 s25, s25, 24
	s_mul_hi_u32 s29, s24, 24
	s_mul_i32 s24, s24, 24
	s_add_i32 s25, s29, s25
	v_mov_b32_e32 v1, s25
	v_add_co_u32_e32 v0, vcc, s24, v18
	v_addc_co_u32_e32 v1, vcc, v19, v1, vcc
	global_store_dwordx2 v[0:1], v[26:27], off
	buffer_wbl2
	s_waitcnt vmcnt(0)
	global_atomic_cmpswap_x2 v[20:21], v3, v[24:27], s[34:35] offset:32 glc
	s_waitcnt vmcnt(0)
	v_cmp_ne_u64_e32 vcc, v[20:21], v[26:27]
	s_and_saveexec_b64 s[24:25], vcc
	s_cbranch_execz .LBB2_1016
; %bb.1014:                             ;   in Loop: Header=BB2_445 Depth=1
	s_mov_b64 s[36:37], 0
.LBB2_1015:                             ;   Parent Loop BB2_445 Depth=1
                                        ; =>  This Inner Loop Header: Depth=2
	s_sleep 1
	global_store_dwordx2 v[0:1], v[20:21], off
	v_mov_b32_e32 v18, s20
	v_mov_b32_e32 v19, s21
	buffer_wbl2
	s_waitcnt vmcnt(0)
	global_atomic_cmpswap_x2 v[18:19], v3, v[18:21], s[34:35] offset:32 glc
	s_waitcnt vmcnt(0)
	v_cmp_eq_u64_e32 vcc, v[18:19], v[20:21]
	s_or_b64 s[36:37], vcc, s[36:37]
	v_pk_mov_b32 v[20:21], v[18:19], v[18:19] op_sel:[0,1]
	s_andn2_b64 exec, exec, s[36:37]
	s_cbranch_execnz .LBB2_1015
.LBB2_1016:                             ;   in Loop: Header=BB2_445 Depth=1
	s_or_b64 exec, exec, s[24:25]
	global_load_dwordx2 v[0:1], v3, s[34:35] offset:16
	s_mov_b64 s[36:37], exec
	v_mbcnt_lo_u32_b32 v2, s36, 0
	v_mbcnt_hi_u32_b32 v2, s37, v2
	v_cmp_eq_u32_e32 vcc, 0, v2
	s_and_saveexec_b64 s[24:25], vcc
	s_cbranch_execz .LBB2_1018
; %bb.1017:                             ;   in Loop: Header=BB2_445 Depth=1
	s_bcnt1_i32_b64 s29, s[36:37]
	v_mov_b32_e32 v2, s29
	buffer_wbl2
	s_waitcnt vmcnt(0)
	global_atomic_add_x2 v[0:1], v[2:3], off offset:8
.LBB2_1018:                             ;   in Loop: Header=BB2_445 Depth=1
	s_or_b64 exec, exec, s[24:25]
	s_waitcnt vmcnt(0)
	global_load_dwordx2 v[18:19], v[0:1], off offset:16
	s_waitcnt vmcnt(0)
	v_cmp_eq_u64_e32 vcc, 0, v[18:19]
	s_cbranch_vccnz .LBB2_1020
; %bb.1019:                             ;   in Loop: Header=BB2_445 Depth=1
	global_load_dword v2, v[0:1], off offset:24
	s_waitcnt vmcnt(0)
	v_and_b32_e32 v0, 0xffffff, v2
	v_readfirstlane_b32 m0, v0
	buffer_wbl2
	global_store_dwordx2 v[18:19], v[2:3], off
	s_sendmsg sendmsg(MSG_INTERRUPT)
.LBB2_1020:                             ;   in Loop: Header=BB2_445 Depth=1
	s_or_b64 exec, exec, s[22:23]
	v_add_co_u32_e32 v0, vcc, v6, v42
	v_addc_co_u32_e32 v1, vcc, 0, v5, vcc
	s_branch .LBB2_1024
.LBB2_1021:                             ;   in Loop: Header=BB2_1024 Depth=2
	s_or_b64 exec, exec, s[22:23]
	v_readfirstlane_b32 s22, v2
	s_cmp_eq_u32 s22, 0
	s_cbranch_scc1 .LBB2_1023
; %bb.1022:                             ;   in Loop: Header=BB2_1024 Depth=2
	s_sleep 1
	s_cbranch_execnz .LBB2_1024
	s_branch .LBB2_1026
.LBB2_1023:                             ;   in Loop: Header=BB2_445 Depth=1
	s_branch .LBB2_1026
.LBB2_1024:                             ;   Parent Loop BB2_445 Depth=1
                                        ; =>  This Inner Loop Header: Depth=2
	v_mov_b32_e32 v2, 1
	s_and_saveexec_b64 s[22:23], s[4:5]
	s_cbranch_execz .LBB2_1021
; %bb.1025:                             ;   in Loop: Header=BB2_1024 Depth=2
	global_load_dword v2, v[22:23], off offset:20 glc
	s_waitcnt vmcnt(0)
	buffer_invl2
	buffer_wbinvl1_vol
	v_and_b32_e32 v2, 1, v2
	s_branch .LBB2_1021
.LBB2_1026:                             ;   in Loop: Header=BB2_445 Depth=1
	global_load_dwordx2 v[18:19], v[0:1], off
	s_and_saveexec_b64 s[22:23], s[4:5]
	s_cbranch_execz .LBB2_1030
; %bb.1027:                             ;   in Loop: Header=BB2_445 Depth=1
	global_load_dwordx2 v[0:1], v3, s[34:35] offset:40
	global_load_dwordx2 v[6:7], v3, s[34:35] offset:24 glc
	global_load_dwordx2 v[24:25], v3, s[34:35]
	v_mov_b32_e32 v2, s21
	s_waitcnt vmcnt(2)
	v_add_co_u32_e32 v5, vcc, 1, v0
	v_addc_co_u32_e32 v23, vcc, 0, v1, vcc
	v_add_co_u32_e32 v20, vcc, s20, v5
	v_addc_co_u32_e32 v21, vcc, v23, v2, vcc
	v_cmp_eq_u64_e32 vcc, 0, v[20:21]
	v_cndmask_b32_e32 v21, v21, v23, vcc
	v_cndmask_b32_e32 v20, v20, v5, vcc
	v_and_b32_e32 v1, v21, v1
	v_and_b32_e32 v0, v20, v0
	v_mul_lo_u32 v1, v1, 24
	v_mul_hi_u32 v2, v0, 24
	v_mul_lo_u32 v0, v0, 24
	v_add_u32_e32 v1, v2, v1
	s_waitcnt vmcnt(0)
	v_add_co_u32_e32 v0, vcc, v24, v0
	v_addc_co_u32_e32 v1, vcc, v25, v1, vcc
	v_mov_b32_e32 v22, v6
	global_store_dwordx2 v[0:1], v[6:7], off
	v_mov_b32_e32 v23, v7
	buffer_wbl2
	s_waitcnt vmcnt(0)
	global_atomic_cmpswap_x2 v[22:23], v3, v[20:23], s[34:35] offset:24 glc
	s_waitcnt vmcnt(0)
	v_cmp_ne_u64_e32 vcc, v[22:23], v[6:7]
	s_and_b64 exec, exec, vcc
	s_cbranch_execz .LBB2_1030
; %bb.1028:                             ;   in Loop: Header=BB2_445 Depth=1
	s_mov_b64 s[4:5], 0
.LBB2_1029:                             ;   Parent Loop BB2_445 Depth=1
                                        ; =>  This Inner Loop Header: Depth=2
	s_sleep 1
	global_store_dwordx2 v[0:1], v[22:23], off
	buffer_wbl2
	s_waitcnt vmcnt(0)
	global_atomic_cmpswap_x2 v[6:7], v3, v[20:23], s[34:35] offset:24 glc
	s_waitcnt vmcnt(0)
	v_cmp_eq_u64_e32 vcc, v[6:7], v[22:23]
	s_or_b64 s[4:5], vcc, s[4:5]
	v_pk_mov_b32 v[22:23], v[6:7], v[6:7] op_sel:[0,1]
	s_andn2_b64 exec, exec, s[4:5]
	s_cbranch_execnz .LBB2_1029
.LBB2_1030:                             ;   in Loop: Header=BB2_445 Depth=1
	s_or_b64 exec, exec, s[22:23]
.LBB2_1031:                             ;   in Loop: Header=BB2_445 Depth=1
	s_and_b32 s22, s7, 1
	s_getpc_b64 s[4:5]
	s_add_u32 s4, s4, .str.4@rel32@lo+4
	s_addc_u32 s5, s5, .str.4@rel32@hi+12
	s_getpc_b64 s[20:21]
	s_add_u32 s20, s20, .str.3@rel32@lo+4
	s_addc_u32 s21, s21, .str.3@rel32@hi+12
	s_cmp_eq_u32 s22, 0
	s_cselect_b32 s21, s5, s21
	s_cselect_b32 s20, s4, s20
	s_cmp_lg_u64 s[20:21], 0
	s_cselect_b64 s[4:5], -1, 0
	s_cmp_eq_u64 s[20:21], 0
	s_mov_b64 s[22:23], 0
	s_cbranch_scc1 .LBB2_1035
; %bb.1032:                             ;   in Loop: Header=BB2_445 Depth=1
	s_add_u32 s22, s20, -1
	s_addc_u32 s23, s21, -1
.LBB2_1033:                             ;   Parent Loop BB2_445 Depth=1
                                        ; =>  This Inner Loop Header: Depth=2
	global_load_ubyte v0, v3, s[22:23] offset:1
	s_add_u32 s24, s22, 1
	s_addc_u32 s25, s23, 0
	s_mov_b64 s[22:23], s[24:25]
	s_waitcnt vmcnt(0)
	v_cmp_ne_u16_e32 vcc, 0, v0
	s_cbranch_vccnz .LBB2_1033
; %bb.1034:                             ;   in Loop: Header=BB2_445 Depth=1
	s_sub_u32 s22, s24, s20
	s_subb_u32 s23, s25, s21
	s_add_u32 s22, s22, 1
	s_addc_u32 s23, s23, 0
.LBB2_1035:                             ;   in Loop: Header=BB2_445 Depth=1
	s_and_b64 vcc, exec, s[4:5]
	s_cbranch_vccz .LBB2_1120
; %bb.1036:                             ;   in Loop: Header=BB2_445 Depth=1
	s_waitcnt vmcnt(0)
	v_and_b32_e32 v0, 2, v18
	v_and_b32_e32 v20, -3, v18
	v_mov_b32_e32 v21, v19
	s_branch .LBB2_1038
.LBB2_1037:                             ;   in Loop: Header=BB2_1038 Depth=2
	s_or_b64 exec, exec, s[38:39]
	s_sub_u32 s22, s22, s24
	s_subb_u32 s23, s23, s25
	s_add_u32 s20, s20, s24
	s_addc_u32 s21, s21, s25
	s_cmp_lg_u64 s[22:23], 0
	s_cbranch_scc0 .LBB2_1119
.LBB2_1038:                             ;   Parent Loop BB2_445 Depth=1
                                        ; =>  This Loop Header: Depth=2
                                        ;       Child Loop BB2_1041 Depth 3
                                        ;       Child Loop BB2_1048 Depth 3
	;; [unrolled: 1-line block ×11, first 2 shown]
	v_cmp_lt_u64_e64 s[4:5], s[22:23], 56
	s_and_b64 s[4:5], s[4:5], exec
	v_cmp_gt_u64_e64 s[4:5], s[22:23], 7
	s_cselect_b32 s25, s23, 0
	s_cselect_b32 s24, s22, 56
	s_and_b64 vcc, exec, s[4:5]
	s_cbranch_vccnz .LBB2_1043
; %bb.1039:                             ;   in Loop: Header=BB2_1038 Depth=2
	s_mov_b64 s[4:5], 0
	s_cmp_eq_u64 s[22:23], 0
	s_waitcnt vmcnt(0)
	v_pk_mov_b32 v[22:23], 0, 0
	s_cbranch_scc1 .LBB2_1042
; %bb.1040:                             ;   in Loop: Header=BB2_1038 Depth=2
	s_lshl_b64 s[36:37], s[24:25], 3
	s_mov_b64 s[38:39], 0
	v_pk_mov_b32 v[22:23], 0, 0
	s_mov_b64 s[40:41], s[20:21]
.LBB2_1041:                             ;   Parent Loop BB2_445 Depth=1
                                        ;     Parent Loop BB2_1038 Depth=2
                                        ; =>    This Inner Loop Header: Depth=3
	global_load_ubyte v1, v3, s[40:41]
	s_waitcnt vmcnt(0)
	v_and_b32_e32 v2, 0xffff, v1
	v_lshlrev_b64 v[6:7], s38, v[2:3]
	s_add_u32 s38, s38, 8
	s_addc_u32 s39, s39, 0
	s_add_u32 s40, s40, 1
	s_addc_u32 s41, s41, 0
	v_or_b32_e32 v22, v6, v22
	s_cmp_lg_u32 s36, s38
	v_or_b32_e32 v23, v7, v23
	s_cbranch_scc1 .LBB2_1041
.LBB2_1042:                             ;   in Loop: Header=BB2_1038 Depth=2
	s_mov_b32 s29, 0
	s_andn2_b64 vcc, exec, s[4:5]
	s_mov_b64 s[4:5], s[20:21]
	s_cbranch_vccz .LBB2_1044
	s_branch .LBB2_1045
.LBB2_1043:                             ;   in Loop: Header=BB2_1038 Depth=2
                                        ; implicit-def: $vgpr22_vgpr23
                                        ; implicit-def: $sgpr29
	s_mov_b64 s[4:5], s[20:21]
.LBB2_1044:                             ;   in Loop: Header=BB2_1038 Depth=2
	global_load_dwordx2 v[22:23], v3, s[20:21]
	s_add_i32 s29, s24, -8
	s_add_u32 s4, s20, 8
	s_addc_u32 s5, s21, 0
.LBB2_1045:                             ;   in Loop: Header=BB2_1038 Depth=2
	s_cmp_gt_u32 s29, 7
	s_cbranch_scc1 .LBB2_1049
; %bb.1046:                             ;   in Loop: Header=BB2_1038 Depth=2
	s_cmp_eq_u32 s29, 0
	s_cbranch_scc1 .LBB2_1050
; %bb.1047:                             ;   in Loop: Header=BB2_1038 Depth=2
	s_mov_b64 s[36:37], 0
	v_pk_mov_b32 v[24:25], 0, 0
	s_mov_b64 s[38:39], 0
.LBB2_1048:                             ;   Parent Loop BB2_445 Depth=1
                                        ;     Parent Loop BB2_1038 Depth=2
                                        ; =>    This Inner Loop Header: Depth=3
	s_add_u32 s40, s4, s38
	s_addc_u32 s41, s5, s39
	global_load_ubyte v1, v3, s[40:41]
	s_add_u32 s38, s38, 1
	s_addc_u32 s39, s39, 0
	s_waitcnt vmcnt(0)
	v_and_b32_e32 v2, 0xffff, v1
	v_lshlrev_b64 v[6:7], s36, v[2:3]
	s_add_u32 s36, s36, 8
	s_addc_u32 s37, s37, 0
	v_or_b32_e32 v24, v6, v24
	s_cmp_lg_u32 s29, s38
	v_or_b32_e32 v25, v7, v25
	s_cbranch_scc1 .LBB2_1048
	s_branch .LBB2_1051
.LBB2_1049:                             ;   in Loop: Header=BB2_1038 Depth=2
                                        ; implicit-def: $vgpr24_vgpr25
                                        ; implicit-def: $sgpr40
	s_branch .LBB2_1052
.LBB2_1050:                             ;   in Loop: Header=BB2_1038 Depth=2
	v_pk_mov_b32 v[24:25], 0, 0
.LBB2_1051:                             ;   in Loop: Header=BB2_1038 Depth=2
	s_mov_b32 s40, 0
	s_cbranch_execnz .LBB2_1053
.LBB2_1052:                             ;   in Loop: Header=BB2_1038 Depth=2
	global_load_dwordx2 v[24:25], v3, s[4:5]
	s_add_i32 s40, s29, -8
	s_add_u32 s4, s4, 8
	s_addc_u32 s5, s5, 0
.LBB2_1053:                             ;   in Loop: Header=BB2_1038 Depth=2
	s_cmp_gt_u32 s40, 7
	s_cbranch_scc1 .LBB2_1057
; %bb.1054:                             ;   in Loop: Header=BB2_1038 Depth=2
	s_cmp_eq_u32 s40, 0
	s_cbranch_scc1 .LBB2_1058
; %bb.1055:                             ;   in Loop: Header=BB2_1038 Depth=2
	s_mov_b64 s[36:37], 0
	v_pk_mov_b32 v[26:27], 0, 0
	s_mov_b64 s[38:39], 0
.LBB2_1056:                             ;   Parent Loop BB2_445 Depth=1
                                        ;     Parent Loop BB2_1038 Depth=2
                                        ; =>    This Inner Loop Header: Depth=3
	s_add_u32 s42, s4, s38
	s_addc_u32 s43, s5, s39
	global_load_ubyte v1, v3, s[42:43]
	s_add_u32 s38, s38, 1
	s_addc_u32 s39, s39, 0
	s_waitcnt vmcnt(0)
	v_and_b32_e32 v2, 0xffff, v1
	v_lshlrev_b64 v[6:7], s36, v[2:3]
	s_add_u32 s36, s36, 8
	s_addc_u32 s37, s37, 0
	v_or_b32_e32 v26, v6, v26
	s_cmp_lg_u32 s40, s38
	v_or_b32_e32 v27, v7, v27
	s_cbranch_scc1 .LBB2_1056
	s_branch .LBB2_1059
.LBB2_1057:                             ;   in Loop: Header=BB2_1038 Depth=2
                                        ; implicit-def: $sgpr29
	s_branch .LBB2_1060
.LBB2_1058:                             ;   in Loop: Header=BB2_1038 Depth=2
	v_pk_mov_b32 v[26:27], 0, 0
.LBB2_1059:                             ;   in Loop: Header=BB2_1038 Depth=2
	s_mov_b32 s29, 0
	s_cbranch_execnz .LBB2_1061
.LBB2_1060:                             ;   in Loop: Header=BB2_1038 Depth=2
	global_load_dwordx2 v[26:27], v3, s[4:5]
	s_add_i32 s29, s40, -8
	s_add_u32 s4, s4, 8
	s_addc_u32 s5, s5, 0
.LBB2_1061:                             ;   in Loop: Header=BB2_1038 Depth=2
	s_cmp_gt_u32 s29, 7
	s_cbranch_scc1 .LBB2_1065
; %bb.1062:                             ;   in Loop: Header=BB2_1038 Depth=2
	s_cmp_eq_u32 s29, 0
	s_cbranch_scc1 .LBB2_1066
; %bb.1063:                             ;   in Loop: Header=BB2_1038 Depth=2
	s_mov_b64 s[36:37], 0
	v_pk_mov_b32 v[28:29], 0, 0
	s_mov_b64 s[38:39], 0
.LBB2_1064:                             ;   Parent Loop BB2_445 Depth=1
                                        ;     Parent Loop BB2_1038 Depth=2
                                        ; =>    This Inner Loop Header: Depth=3
	s_add_u32 s40, s4, s38
	s_addc_u32 s41, s5, s39
	global_load_ubyte v1, v3, s[40:41]
	s_add_u32 s38, s38, 1
	s_addc_u32 s39, s39, 0
	s_waitcnt vmcnt(0)
	v_and_b32_e32 v2, 0xffff, v1
	v_lshlrev_b64 v[6:7], s36, v[2:3]
	s_add_u32 s36, s36, 8
	s_addc_u32 s37, s37, 0
	v_or_b32_e32 v28, v6, v28
	s_cmp_lg_u32 s29, s38
	v_or_b32_e32 v29, v7, v29
	s_cbranch_scc1 .LBB2_1064
	s_branch .LBB2_1067
.LBB2_1065:                             ;   in Loop: Header=BB2_1038 Depth=2
                                        ; implicit-def: $vgpr28_vgpr29
                                        ; implicit-def: $sgpr40
	s_branch .LBB2_1068
.LBB2_1066:                             ;   in Loop: Header=BB2_1038 Depth=2
	v_pk_mov_b32 v[28:29], 0, 0
.LBB2_1067:                             ;   in Loop: Header=BB2_1038 Depth=2
	s_mov_b32 s40, 0
	s_cbranch_execnz .LBB2_1069
.LBB2_1068:                             ;   in Loop: Header=BB2_1038 Depth=2
	global_load_dwordx2 v[28:29], v3, s[4:5]
	s_add_i32 s40, s29, -8
	s_add_u32 s4, s4, 8
	s_addc_u32 s5, s5, 0
.LBB2_1069:                             ;   in Loop: Header=BB2_1038 Depth=2
	s_cmp_gt_u32 s40, 7
	s_cbranch_scc1 .LBB2_1073
; %bb.1070:                             ;   in Loop: Header=BB2_1038 Depth=2
	s_cmp_eq_u32 s40, 0
	s_cbranch_scc1 .LBB2_1074
; %bb.1071:                             ;   in Loop: Header=BB2_1038 Depth=2
	s_mov_b64 s[36:37], 0
	v_pk_mov_b32 v[30:31], 0, 0
	s_mov_b64 s[38:39], 0
.LBB2_1072:                             ;   Parent Loop BB2_445 Depth=1
                                        ;     Parent Loop BB2_1038 Depth=2
                                        ; =>    This Inner Loop Header: Depth=3
	s_add_u32 s42, s4, s38
	s_addc_u32 s43, s5, s39
	global_load_ubyte v1, v3, s[42:43]
	s_add_u32 s38, s38, 1
	s_addc_u32 s39, s39, 0
	s_waitcnt vmcnt(0)
	v_and_b32_e32 v2, 0xffff, v1
	v_lshlrev_b64 v[6:7], s36, v[2:3]
	s_add_u32 s36, s36, 8
	s_addc_u32 s37, s37, 0
	v_or_b32_e32 v30, v6, v30
	s_cmp_lg_u32 s40, s38
	v_or_b32_e32 v31, v7, v31
	s_cbranch_scc1 .LBB2_1072
	s_branch .LBB2_1075
.LBB2_1073:                             ;   in Loop: Header=BB2_1038 Depth=2
                                        ; implicit-def: $sgpr29
	s_branch .LBB2_1076
.LBB2_1074:                             ;   in Loop: Header=BB2_1038 Depth=2
	v_pk_mov_b32 v[30:31], 0, 0
.LBB2_1075:                             ;   in Loop: Header=BB2_1038 Depth=2
	s_mov_b32 s29, 0
	s_cbranch_execnz .LBB2_1077
.LBB2_1076:                             ;   in Loop: Header=BB2_1038 Depth=2
	global_load_dwordx2 v[30:31], v3, s[4:5]
	s_add_i32 s29, s40, -8
	s_add_u32 s4, s4, 8
	s_addc_u32 s5, s5, 0
.LBB2_1077:                             ;   in Loop: Header=BB2_1038 Depth=2
	s_cmp_gt_u32 s29, 7
	s_cbranch_scc1 .LBB2_1081
; %bb.1078:                             ;   in Loop: Header=BB2_1038 Depth=2
	s_cmp_eq_u32 s29, 0
	s_cbranch_scc1 .LBB2_1082
; %bb.1079:                             ;   in Loop: Header=BB2_1038 Depth=2
	s_mov_b64 s[36:37], 0
	v_pk_mov_b32 v[32:33], 0, 0
	s_mov_b64 s[38:39], 0
.LBB2_1080:                             ;   Parent Loop BB2_445 Depth=1
                                        ;     Parent Loop BB2_1038 Depth=2
                                        ; =>    This Inner Loop Header: Depth=3
	s_add_u32 s40, s4, s38
	s_addc_u32 s41, s5, s39
	global_load_ubyte v1, v3, s[40:41]
	s_add_u32 s38, s38, 1
	s_addc_u32 s39, s39, 0
	s_waitcnt vmcnt(0)
	v_and_b32_e32 v2, 0xffff, v1
	v_lshlrev_b64 v[6:7], s36, v[2:3]
	s_add_u32 s36, s36, 8
	s_addc_u32 s37, s37, 0
	v_or_b32_e32 v32, v6, v32
	s_cmp_lg_u32 s29, s38
	v_or_b32_e32 v33, v7, v33
	s_cbranch_scc1 .LBB2_1080
	s_branch .LBB2_1083
.LBB2_1081:                             ;   in Loop: Header=BB2_1038 Depth=2
                                        ; implicit-def: $vgpr32_vgpr33
                                        ; implicit-def: $sgpr40
	s_branch .LBB2_1084
.LBB2_1082:                             ;   in Loop: Header=BB2_1038 Depth=2
	v_pk_mov_b32 v[32:33], 0, 0
.LBB2_1083:                             ;   in Loop: Header=BB2_1038 Depth=2
	s_mov_b32 s40, 0
	s_cbranch_execnz .LBB2_1085
.LBB2_1084:                             ;   in Loop: Header=BB2_1038 Depth=2
	global_load_dwordx2 v[32:33], v3, s[4:5]
	s_add_i32 s40, s29, -8
	s_add_u32 s4, s4, 8
	s_addc_u32 s5, s5, 0
.LBB2_1085:                             ;   in Loop: Header=BB2_1038 Depth=2
	s_cmp_gt_u32 s40, 7
	s_cbranch_scc1 .LBB2_1089
; %bb.1086:                             ;   in Loop: Header=BB2_1038 Depth=2
	s_cmp_eq_u32 s40, 0
	s_cbranch_scc1 .LBB2_1090
; %bb.1087:                             ;   in Loop: Header=BB2_1038 Depth=2
	s_mov_b64 s[36:37], 0
	v_pk_mov_b32 v[34:35], 0, 0
	s_mov_b64 s[38:39], s[4:5]
.LBB2_1088:                             ;   Parent Loop BB2_445 Depth=1
                                        ;     Parent Loop BB2_1038 Depth=2
                                        ; =>    This Inner Loop Header: Depth=3
	global_load_ubyte v1, v3, s[38:39]
	s_add_i32 s40, s40, -1
	s_waitcnt vmcnt(0)
	v_and_b32_e32 v2, 0xffff, v1
	v_lshlrev_b64 v[6:7], s36, v[2:3]
	s_add_u32 s36, s36, 8
	s_addc_u32 s37, s37, 0
	s_add_u32 s38, s38, 1
	s_addc_u32 s39, s39, 0
	v_or_b32_e32 v34, v6, v34
	s_cmp_lg_u32 s40, 0
	v_or_b32_e32 v35, v7, v35
	s_cbranch_scc1 .LBB2_1088
	s_branch .LBB2_1091
.LBB2_1089:                             ;   in Loop: Header=BB2_1038 Depth=2
	s_branch .LBB2_1092
.LBB2_1090:                             ;   in Loop: Header=BB2_1038 Depth=2
	v_pk_mov_b32 v[34:35], 0, 0
.LBB2_1091:                             ;   in Loop: Header=BB2_1038 Depth=2
	s_cbranch_execnz .LBB2_1093
.LBB2_1092:                             ;   in Loop: Header=BB2_1038 Depth=2
	global_load_dwordx2 v[34:35], v3, s[4:5]
.LBB2_1093:                             ;   in Loop: Header=BB2_1038 Depth=2
	v_readfirstlane_b32 s4, v43
	v_cmp_eq_u32_e64 s[4:5], s4, v43
	v_pk_mov_b32 v[6:7], 0, 0
	s_and_saveexec_b64 s[36:37], s[4:5]
	s_cbranch_execz .LBB2_1099
; %bb.1094:                             ;   in Loop: Header=BB2_1038 Depth=2
	global_load_dwordx2 v[38:39], v3, s[34:35] offset:24 glc
	s_waitcnt vmcnt(0)
	buffer_invl2
	buffer_wbinvl1_vol
	global_load_dwordx2 v[6:7], v3, s[34:35] offset:40
	global_load_dwordx2 v[36:37], v3, s[34:35]
	s_waitcnt vmcnt(1)
	v_and_b32_e32 v1, v6, v38
	v_and_b32_e32 v2, v7, v39
	v_mul_lo_u32 v2, v2, 24
	v_mul_hi_u32 v5, v1, 24
	v_mul_lo_u32 v1, v1, 24
	v_add_u32_e32 v2, v5, v2
	s_waitcnt vmcnt(0)
	v_add_co_u32_e32 v6, vcc, v36, v1
	v_addc_co_u32_e32 v7, vcc, v37, v2, vcc
	global_load_dwordx2 v[36:37], v[6:7], off glc
	s_waitcnt vmcnt(0)
	global_atomic_cmpswap_x2 v[6:7], v3, v[36:39], s[34:35] offset:24 glc
	s_waitcnt vmcnt(0)
	buffer_invl2
	buffer_wbinvl1_vol
	v_cmp_ne_u64_e32 vcc, v[6:7], v[38:39]
	s_and_saveexec_b64 s[38:39], vcc
	s_cbranch_execz .LBB2_1098
; %bb.1095:                             ;   in Loop: Header=BB2_1038 Depth=2
	s_mov_b64 s[40:41], 0
.LBB2_1096:                             ;   Parent Loop BB2_445 Depth=1
                                        ;     Parent Loop BB2_1038 Depth=2
                                        ; =>    This Inner Loop Header: Depth=3
	s_sleep 1
	global_load_dwordx2 v[36:37], v3, s[34:35] offset:40
	global_load_dwordx2 v[40:41], v3, s[34:35]
	v_pk_mov_b32 v[38:39], v[6:7], v[6:7] op_sel:[0,1]
	s_waitcnt vmcnt(1)
	v_and_b32_e32 v2, v36, v38
	s_waitcnt vmcnt(0)
	v_mad_u64_u32 v[6:7], s[42:43], v2, 24, v[40:41]
	v_and_b32_e32 v1, v37, v39
	v_mov_b32_e32 v2, v7
	v_mad_u64_u32 v[36:37], s[42:43], v1, 24, v[2:3]
	v_mov_b32_e32 v7, v36
	global_load_dwordx2 v[36:37], v[6:7], off glc
	s_waitcnt vmcnt(0)
	global_atomic_cmpswap_x2 v[6:7], v3, v[36:39], s[34:35] offset:24 glc
	s_waitcnt vmcnt(0)
	buffer_invl2
	buffer_wbinvl1_vol
	v_cmp_eq_u64_e32 vcc, v[6:7], v[38:39]
	s_or_b64 s[40:41], vcc, s[40:41]
	s_andn2_b64 exec, exec, s[40:41]
	s_cbranch_execnz .LBB2_1096
; %bb.1097:                             ;   in Loop: Header=BB2_1038 Depth=2
	s_or_b64 exec, exec, s[40:41]
.LBB2_1098:                             ;   in Loop: Header=BB2_1038 Depth=2
	s_or_b64 exec, exec, s[38:39]
.LBB2_1099:                             ;   in Loop: Header=BB2_1038 Depth=2
	s_or_b64 exec, exec, s[36:37]
	global_load_dwordx2 v[40:41], v3, s[34:35] offset:40
	global_load_dwordx4 v[36:39], v3, s[34:35]
	v_readfirstlane_b32 s36, v6
	v_readfirstlane_b32 s37, v7
	s_mov_b64 s[38:39], exec
	s_waitcnt vmcnt(1)
	v_readfirstlane_b32 s40, v40
	v_readfirstlane_b32 s41, v41
	s_and_b64 s[40:41], s[36:37], s[40:41]
	s_mul_i32 s29, s41, 24
	s_mul_hi_u32 s42, s40, 24
	s_mul_i32 s43, s40, 24
	s_add_i32 s29, s42, s29
	v_mov_b32_e32 v1, s29
	s_waitcnt vmcnt(0)
	v_add_co_u32_e32 v40, vcc, s43, v36
	v_addc_co_u32_e32 v41, vcc, v37, v1, vcc
	s_and_saveexec_b64 s[42:43], s[4:5]
	s_cbranch_execz .LBB2_1101
; %bb.1100:                             ;   in Loop: Header=BB2_1038 Depth=2
	v_pk_mov_b32 v[6:7], s[38:39], s[38:39] op_sel:[0,1]
	global_store_dwordx4 v[40:41], v[6:9], off offset:8
.LBB2_1101:                             ;   in Loop: Header=BB2_1038 Depth=2
	s_or_b64 exec, exec, s[42:43]
	s_lshl_b64 s[38:39], s[40:41], 12
	v_mov_b32_e32 v1, s39
	v_add_co_u32_e32 v6, vcc, s38, v38
	v_addc_co_u32_e32 v1, vcc, v39, v1, vcc
	v_or_b32_e32 v2, 0, v21
	v_or_b32_e32 v5, v20, v0
	v_cmp_gt_u64_e64 vcc, s[22:23], 56
	s_lshl_b32 s29, s24, 2
	v_cndmask_b32_e32 v21, v2, v21, vcc
	v_cndmask_b32_e32 v2, v5, v20, vcc
	s_add_i32 s29, s29, 28
	s_and_b32 s29, s29, 0x1e0
	v_and_b32_e32 v2, 0xffffff1f, v2
	v_or_b32_e32 v20, s29, v2
	v_readfirstlane_b32 s38, v6
	v_readfirstlane_b32 s39, v1
	s_nop 4
	global_store_dwordx4 v42, v[20:23], s[38:39]
	global_store_dwordx4 v42, v[24:27], s[38:39] offset:16
	global_store_dwordx4 v42, v[28:31], s[38:39] offset:32
	;; [unrolled: 1-line block ×3, first 2 shown]
	s_and_saveexec_b64 s[38:39], s[4:5]
	s_cbranch_execz .LBB2_1109
; %bb.1102:                             ;   in Loop: Header=BB2_1038 Depth=2
	global_load_dwordx2 v[28:29], v3, s[34:35] offset:32 glc
	global_load_dwordx2 v[20:21], v3, s[34:35] offset:40
	v_mov_b32_e32 v26, s36
	v_mov_b32_e32 v27, s37
	s_waitcnt vmcnt(0)
	v_readfirstlane_b32 s40, v20
	v_readfirstlane_b32 s41, v21
	s_and_b64 s[40:41], s[40:41], s[36:37]
	s_mul_i32 s29, s41, 24
	s_mul_hi_u32 s41, s40, 24
	s_mul_i32 s40, s40, 24
	s_add_i32 s29, s41, s29
	v_mov_b32_e32 v2, s29
	v_add_co_u32_e32 v24, vcc, s40, v36
	v_addc_co_u32_e32 v25, vcc, v37, v2, vcc
	global_store_dwordx2 v[24:25], v[28:29], off
	buffer_wbl2
	s_waitcnt vmcnt(0)
	global_atomic_cmpswap_x2 v[22:23], v3, v[26:29], s[34:35] offset:32 glc
	s_waitcnt vmcnt(0)
	v_cmp_ne_u64_e32 vcc, v[22:23], v[28:29]
	s_and_saveexec_b64 s[40:41], vcc
	s_cbranch_execz .LBB2_1105
; %bb.1103:                             ;   in Loop: Header=BB2_1038 Depth=2
	s_mov_b64 s[42:43], 0
.LBB2_1104:                             ;   Parent Loop BB2_445 Depth=1
                                        ;     Parent Loop BB2_1038 Depth=2
                                        ; =>    This Inner Loop Header: Depth=3
	s_sleep 1
	global_store_dwordx2 v[24:25], v[22:23], off
	v_mov_b32_e32 v20, s36
	v_mov_b32_e32 v21, s37
	buffer_wbl2
	s_waitcnt vmcnt(0)
	global_atomic_cmpswap_x2 v[20:21], v3, v[20:23], s[34:35] offset:32 glc
	s_waitcnt vmcnt(0)
	v_cmp_eq_u64_e32 vcc, v[20:21], v[22:23]
	s_or_b64 s[42:43], vcc, s[42:43]
	v_pk_mov_b32 v[22:23], v[20:21], v[20:21] op_sel:[0,1]
	s_andn2_b64 exec, exec, s[42:43]
	s_cbranch_execnz .LBB2_1104
.LBB2_1105:                             ;   in Loop: Header=BB2_1038 Depth=2
	s_or_b64 exec, exec, s[40:41]
	global_load_dwordx2 v[20:21], v3, s[34:35] offset:16
	s_mov_b64 s[42:43], exec
	v_mbcnt_lo_u32_b32 v2, s42, 0
	v_mbcnt_hi_u32_b32 v2, s43, v2
	v_cmp_eq_u32_e32 vcc, 0, v2
	s_and_saveexec_b64 s[40:41], vcc
	s_cbranch_execz .LBB2_1107
; %bb.1106:                             ;   in Loop: Header=BB2_1038 Depth=2
	s_bcnt1_i32_b64 s29, s[42:43]
	v_mov_b32_e32 v2, s29
	buffer_wbl2
	s_waitcnt vmcnt(0)
	global_atomic_add_x2 v[20:21], v[2:3], off offset:8
.LBB2_1107:                             ;   in Loop: Header=BB2_1038 Depth=2
	s_or_b64 exec, exec, s[40:41]
	s_waitcnt vmcnt(0)
	global_load_dwordx2 v[22:23], v[20:21], off offset:16
	s_waitcnt vmcnt(0)
	v_cmp_eq_u64_e32 vcc, 0, v[22:23]
	s_cbranch_vccnz .LBB2_1109
; %bb.1108:                             ;   in Loop: Header=BB2_1038 Depth=2
	global_load_dword v2, v[20:21], off offset:24
	buffer_wbl2
	s_waitcnt vmcnt(0)
	global_store_dwordx2 v[22:23], v[2:3], off
	v_and_b32_e32 v2, 0xffffff, v2
	v_readfirstlane_b32 m0, v2
	s_sendmsg sendmsg(MSG_INTERRUPT)
.LBB2_1109:                             ;   in Loop: Header=BB2_1038 Depth=2
	s_or_b64 exec, exec, s[38:39]
	v_add_co_u32_e32 v6, vcc, v6, v42
	v_addc_co_u32_e32 v7, vcc, 0, v1, vcc
	s_branch .LBB2_1113
.LBB2_1110:                             ;   in Loop: Header=BB2_1113 Depth=3
	s_or_b64 exec, exec, s[38:39]
	v_readfirstlane_b32 s29, v1
	s_cmp_eq_u32 s29, 0
	s_cbranch_scc1 .LBB2_1112
; %bb.1111:                             ;   in Loop: Header=BB2_1113 Depth=3
	s_sleep 1
	s_cbranch_execnz .LBB2_1113
	s_branch .LBB2_1115
.LBB2_1112:                             ;   in Loop: Header=BB2_1038 Depth=2
	s_branch .LBB2_1115
.LBB2_1113:                             ;   Parent Loop BB2_445 Depth=1
                                        ;     Parent Loop BB2_1038 Depth=2
                                        ; =>    This Inner Loop Header: Depth=3
	v_mov_b32_e32 v1, 1
	s_and_saveexec_b64 s[38:39], s[4:5]
	s_cbranch_execz .LBB2_1110
; %bb.1114:                             ;   in Loop: Header=BB2_1113 Depth=3
	global_load_dword v1, v[40:41], off offset:20 glc
	s_waitcnt vmcnt(0)
	buffer_invl2
	buffer_wbinvl1_vol
	v_and_b32_e32 v1, 1, v1
	s_branch .LBB2_1110
.LBB2_1115:                             ;   in Loop: Header=BB2_1038 Depth=2
	global_load_dwordx4 v[20:23], v[6:7], off
	s_and_saveexec_b64 s[38:39], s[4:5]
	s_cbranch_execz .LBB2_1037
; %bb.1116:                             ;   in Loop: Header=BB2_1038 Depth=2
	global_load_dwordx2 v[6:7], v3, s[34:35] offset:40
	global_load_dwordx2 v[26:27], v3, s[34:35] offset:24 glc
	global_load_dwordx2 v[28:29], v3, s[34:35]
	v_mov_b32_e32 v1, s37
	s_waitcnt vmcnt(2)
	v_add_co_u32_e32 v2, vcc, 1, v6
	v_addc_co_u32_e32 v5, vcc, 0, v7, vcc
	v_add_co_u32_e32 v22, vcc, s36, v2
	v_addc_co_u32_e32 v23, vcc, v5, v1, vcc
	v_cmp_eq_u64_e32 vcc, 0, v[22:23]
	v_cndmask_b32_e32 v23, v23, v5, vcc
	v_cndmask_b32_e32 v22, v22, v2, vcc
	v_and_b32_e32 v1, v23, v7
	v_and_b32_e32 v2, v22, v6
	v_mul_lo_u32 v1, v1, 24
	v_mul_hi_u32 v5, v2, 24
	v_mul_lo_u32 v2, v2, 24
	v_add_u32_e32 v1, v5, v1
	s_waitcnt vmcnt(0)
	v_add_co_u32_e32 v6, vcc, v28, v2
	v_addc_co_u32_e32 v7, vcc, v29, v1, vcc
	v_mov_b32_e32 v24, v26
	global_store_dwordx2 v[6:7], v[26:27], off
	v_mov_b32_e32 v25, v27
	buffer_wbl2
	s_waitcnt vmcnt(0)
	global_atomic_cmpswap_x2 v[24:25], v3, v[22:25], s[34:35] offset:24 glc
	s_waitcnt vmcnt(0)
	v_cmp_ne_u64_e32 vcc, v[24:25], v[26:27]
	s_and_b64 exec, exec, vcc
	s_cbranch_execz .LBB2_1037
; %bb.1117:                             ;   in Loop: Header=BB2_1038 Depth=2
	s_mov_b64 s[4:5], 0
.LBB2_1118:                             ;   Parent Loop BB2_445 Depth=1
                                        ;     Parent Loop BB2_1038 Depth=2
                                        ; =>    This Inner Loop Header: Depth=3
	s_sleep 1
	global_store_dwordx2 v[6:7], v[24:25], off
	buffer_wbl2
	s_waitcnt vmcnt(0)
	global_atomic_cmpswap_x2 v[26:27], v3, v[22:25], s[34:35] offset:24 glc
	s_waitcnt vmcnt(0)
	v_cmp_eq_u64_e32 vcc, v[26:27], v[24:25]
	s_or_b64 s[4:5], vcc, s[4:5]
	v_pk_mov_b32 v[24:25], v[26:27], v[26:27] op_sel:[0,1]
	s_andn2_b64 exec, exec, s[4:5]
	s_cbranch_execnz .LBB2_1118
	s_branch .LBB2_1037
.LBB2_1119:                             ;   in Loop: Header=BB2_445 Depth=1
	s_branch .LBB2_1148
.LBB2_1120:                             ;   in Loop: Header=BB2_445 Depth=1
                                        ; implicit-def: $vgpr20_vgpr21
	s_cbranch_execz .LBB2_1148
; %bb.1121:                             ;   in Loop: Header=BB2_445 Depth=1
	v_readfirstlane_b32 s4, v43
	v_cmp_eq_u32_e64 s[4:5], s4, v43
	s_waitcnt vmcnt(0)
	v_pk_mov_b32 v[0:1], 0, 0
	s_and_saveexec_b64 s[20:21], s[4:5]
	s_cbranch_execz .LBB2_1127
; %bb.1122:                             ;   in Loop: Header=BB2_445 Depth=1
	global_load_dwordx2 v[22:23], v3, s[34:35] offset:24 glc
	s_waitcnt vmcnt(0)
	buffer_invl2
	buffer_wbinvl1_vol
	global_load_dwordx2 v[0:1], v3, s[34:35] offset:40
	global_load_dwordx2 v[6:7], v3, s[34:35]
	s_waitcnt vmcnt(1)
	v_and_b32_e32 v0, v0, v22
	v_and_b32_e32 v1, v1, v23
	v_mul_lo_u32 v1, v1, 24
	v_mul_hi_u32 v2, v0, 24
	v_mul_lo_u32 v0, v0, 24
	v_add_u32_e32 v1, v2, v1
	s_waitcnt vmcnt(0)
	v_add_co_u32_e32 v0, vcc, v6, v0
	v_addc_co_u32_e32 v1, vcc, v7, v1, vcc
	global_load_dwordx2 v[20:21], v[0:1], off glc
	s_waitcnt vmcnt(0)
	global_atomic_cmpswap_x2 v[0:1], v3, v[20:23], s[34:35] offset:24 glc
	s_waitcnt vmcnt(0)
	buffer_invl2
	buffer_wbinvl1_vol
	v_cmp_ne_u64_e32 vcc, v[0:1], v[22:23]
	s_and_saveexec_b64 s[22:23], vcc
	s_cbranch_execz .LBB2_1126
; %bb.1123:                             ;   in Loop: Header=BB2_445 Depth=1
	s_mov_b64 s[24:25], 0
.LBB2_1124:                             ;   Parent Loop BB2_445 Depth=1
                                        ; =>  This Inner Loop Header: Depth=2
	s_sleep 1
	global_load_dwordx2 v[6:7], v3, s[34:35] offset:40
	global_load_dwordx2 v[20:21], v3, s[34:35]
	v_pk_mov_b32 v[22:23], v[0:1], v[0:1] op_sel:[0,1]
	s_waitcnt vmcnt(1)
	v_and_b32_e32 v0, v6, v22
	s_waitcnt vmcnt(0)
	v_mad_u64_u32 v[0:1], s[36:37], v0, 24, v[20:21]
	v_and_b32_e32 v5, v7, v23
	v_mov_b32_e32 v2, v1
	v_mad_u64_u32 v[6:7], s[36:37], v5, 24, v[2:3]
	v_mov_b32_e32 v1, v6
	global_load_dwordx2 v[20:21], v[0:1], off glc
	s_waitcnt vmcnt(0)
	global_atomic_cmpswap_x2 v[0:1], v3, v[20:23], s[34:35] offset:24 glc
	s_waitcnt vmcnt(0)
	buffer_invl2
	buffer_wbinvl1_vol
	v_cmp_eq_u64_e32 vcc, v[0:1], v[22:23]
	s_or_b64 s[24:25], vcc, s[24:25]
	s_andn2_b64 exec, exec, s[24:25]
	s_cbranch_execnz .LBB2_1124
; %bb.1125:                             ;   in Loop: Header=BB2_445 Depth=1
	s_or_b64 exec, exec, s[24:25]
.LBB2_1126:                             ;   in Loop: Header=BB2_445 Depth=1
	s_or_b64 exec, exec, s[22:23]
.LBB2_1127:                             ;   in Loop: Header=BB2_445 Depth=1
	s_or_b64 exec, exec, s[20:21]
	global_load_dwordx2 v[6:7], v3, s[34:35] offset:40
	global_load_dwordx4 v[22:25], v3, s[34:35]
	v_readfirstlane_b32 s20, v0
	v_readfirstlane_b32 s21, v1
	s_mov_b64 s[22:23], exec
	s_waitcnt vmcnt(1)
	v_readfirstlane_b32 s24, v6
	v_readfirstlane_b32 s25, v7
	s_and_b64 s[24:25], s[20:21], s[24:25]
	s_mul_i32 s29, s25, 24
	s_mul_hi_u32 s36, s24, 24
	s_mul_i32 s37, s24, 24
	s_add_i32 s29, s36, s29
	v_mov_b32_e32 v1, s29
	s_waitcnt vmcnt(0)
	v_add_co_u32_e32 v0, vcc, s37, v22
	v_addc_co_u32_e32 v1, vcc, v23, v1, vcc
	s_and_saveexec_b64 s[36:37], s[4:5]
	s_cbranch_execz .LBB2_1129
; %bb.1128:                             ;   in Loop: Header=BB2_445 Depth=1
	v_pk_mov_b32 v[6:7], s[22:23], s[22:23] op_sel:[0,1]
	global_store_dwordx4 v[0:1], v[6:9], off offset:8
.LBB2_1129:                             ;   in Loop: Header=BB2_445 Depth=1
	s_or_b64 exec, exec, s[36:37]
	s_lshl_b64 s[22:23], s[24:25], 12
	v_mov_b32_e32 v2, s23
	v_add_co_u32_e32 v6, vcc, s22, v24
	v_addc_co_u32_e32 v5, vcc, v25, v2, vcc
	v_and_or_b32 v18, v18, s47, 32
	v_mov_b32_e32 v20, v3
	v_mov_b32_e32 v21, v3
	v_readfirstlane_b32 s22, v6
	v_readfirstlane_b32 s23, v5
	s_nop 4
	global_store_dwordx4 v42, v[18:21], s[22:23]
	s_nop 0
	v_pk_mov_b32 v[20:21], s[10:11], s[10:11] op_sel:[0,1]
	v_pk_mov_b32 v[18:19], s[8:9], s[8:9] op_sel:[0,1]
	global_store_dwordx4 v42, v[18:21], s[22:23] offset:16
	global_store_dwordx4 v42, v[18:21], s[22:23] offset:32
	;; [unrolled: 1-line block ×3, first 2 shown]
	s_and_saveexec_b64 s[22:23], s[4:5]
	s_cbranch_execz .LBB2_1137
; %bb.1130:                             ;   in Loop: Header=BB2_445 Depth=1
	global_load_dwordx2 v[26:27], v3, s[34:35] offset:32 glc
	global_load_dwordx2 v[18:19], v3, s[34:35] offset:40
	v_mov_b32_e32 v24, s20
	v_mov_b32_e32 v25, s21
	s_waitcnt vmcnt(0)
	v_readfirstlane_b32 s24, v18
	v_readfirstlane_b32 s25, v19
	s_and_b64 s[24:25], s[24:25], s[20:21]
	s_mul_i32 s25, s25, 24
	s_mul_hi_u32 s29, s24, 24
	s_mul_i32 s24, s24, 24
	s_add_i32 s25, s29, s25
	v_mov_b32_e32 v2, s25
	v_add_co_u32_e32 v22, vcc, s24, v22
	v_addc_co_u32_e32 v23, vcc, v23, v2, vcc
	global_store_dwordx2 v[22:23], v[26:27], off
	buffer_wbl2
	s_waitcnt vmcnt(0)
	global_atomic_cmpswap_x2 v[20:21], v3, v[24:27], s[34:35] offset:32 glc
	s_waitcnt vmcnt(0)
	v_cmp_ne_u64_e32 vcc, v[20:21], v[26:27]
	s_and_saveexec_b64 s[24:25], vcc
	s_cbranch_execz .LBB2_1133
; %bb.1131:                             ;   in Loop: Header=BB2_445 Depth=1
	s_mov_b64 s[36:37], 0
.LBB2_1132:                             ;   Parent Loop BB2_445 Depth=1
                                        ; =>  This Inner Loop Header: Depth=2
	s_sleep 1
	global_store_dwordx2 v[22:23], v[20:21], off
	v_mov_b32_e32 v18, s20
	v_mov_b32_e32 v19, s21
	buffer_wbl2
	s_waitcnt vmcnt(0)
	global_atomic_cmpswap_x2 v[18:19], v3, v[18:21], s[34:35] offset:32 glc
	s_waitcnt vmcnt(0)
	v_cmp_eq_u64_e32 vcc, v[18:19], v[20:21]
	s_or_b64 s[36:37], vcc, s[36:37]
	v_pk_mov_b32 v[20:21], v[18:19], v[18:19] op_sel:[0,1]
	s_andn2_b64 exec, exec, s[36:37]
	s_cbranch_execnz .LBB2_1132
.LBB2_1133:                             ;   in Loop: Header=BB2_445 Depth=1
	s_or_b64 exec, exec, s[24:25]
	global_load_dwordx2 v[18:19], v3, s[34:35] offset:16
	s_mov_b64 s[36:37], exec
	v_mbcnt_lo_u32_b32 v2, s36, 0
	v_mbcnt_hi_u32_b32 v2, s37, v2
	v_cmp_eq_u32_e32 vcc, 0, v2
	s_and_saveexec_b64 s[24:25], vcc
	s_cbranch_execz .LBB2_1135
; %bb.1134:                             ;   in Loop: Header=BB2_445 Depth=1
	s_bcnt1_i32_b64 s29, s[36:37]
	v_mov_b32_e32 v2, s29
	buffer_wbl2
	s_waitcnt vmcnt(0)
	global_atomic_add_x2 v[18:19], v[2:3], off offset:8
.LBB2_1135:                             ;   in Loop: Header=BB2_445 Depth=1
	s_or_b64 exec, exec, s[24:25]
	s_waitcnt vmcnt(0)
	global_load_dwordx2 v[20:21], v[18:19], off offset:16
	s_waitcnt vmcnt(0)
	v_cmp_eq_u64_e32 vcc, 0, v[20:21]
	s_cbranch_vccnz .LBB2_1137
; %bb.1136:                             ;   in Loop: Header=BB2_445 Depth=1
	global_load_dword v2, v[18:19], off offset:24
	buffer_wbl2
	s_waitcnt vmcnt(0)
	global_store_dwordx2 v[20:21], v[2:3], off
	v_and_b32_e32 v2, 0xffffff, v2
	v_readfirstlane_b32 m0, v2
	s_sendmsg sendmsg(MSG_INTERRUPT)
.LBB2_1137:                             ;   in Loop: Header=BB2_445 Depth=1
	s_or_b64 exec, exec, s[22:23]
	v_add_co_u32_e32 v6, vcc, v6, v42
	v_addc_co_u32_e32 v7, vcc, 0, v5, vcc
	s_branch .LBB2_1141
.LBB2_1138:                             ;   in Loop: Header=BB2_1141 Depth=2
	s_or_b64 exec, exec, s[22:23]
	v_readfirstlane_b32 s22, v2
	s_cmp_eq_u32 s22, 0
	s_cbranch_scc1 .LBB2_1140
; %bb.1139:                             ;   in Loop: Header=BB2_1141 Depth=2
	s_sleep 1
	s_cbranch_execnz .LBB2_1141
	s_branch .LBB2_1143
.LBB2_1140:                             ;   in Loop: Header=BB2_445 Depth=1
	s_branch .LBB2_1143
.LBB2_1141:                             ;   Parent Loop BB2_445 Depth=1
                                        ; =>  This Inner Loop Header: Depth=2
	v_mov_b32_e32 v2, 1
	s_and_saveexec_b64 s[22:23], s[4:5]
	s_cbranch_execz .LBB2_1138
; %bb.1142:                             ;   in Loop: Header=BB2_1141 Depth=2
	global_load_dword v2, v[0:1], off offset:20 glc
	s_waitcnt vmcnt(0)
	buffer_invl2
	buffer_wbinvl1_vol
	v_and_b32_e32 v2, 1, v2
	s_branch .LBB2_1138
.LBB2_1143:                             ;   in Loop: Header=BB2_445 Depth=1
	global_load_dwordx2 v[20:21], v[6:7], off
	s_and_saveexec_b64 s[22:23], s[4:5]
	s_cbranch_execz .LBB2_1147
; %bb.1144:                             ;   in Loop: Header=BB2_445 Depth=1
	global_load_dwordx2 v[0:1], v3, s[34:35] offset:40
	global_load_dwordx2 v[6:7], v3, s[34:35] offset:24 glc
	global_load_dwordx2 v[18:19], v3, s[34:35]
	v_mov_b32_e32 v2, s21
	s_waitcnt vmcnt(2)
	v_add_co_u32_e32 v5, vcc, 1, v0
	v_addc_co_u32_e32 v25, vcc, 0, v1, vcc
	v_add_co_u32_e32 v22, vcc, s20, v5
	v_addc_co_u32_e32 v23, vcc, v25, v2, vcc
	v_cmp_eq_u64_e32 vcc, 0, v[22:23]
	v_cndmask_b32_e32 v23, v23, v25, vcc
	v_cndmask_b32_e32 v22, v22, v5, vcc
	v_and_b32_e32 v1, v23, v1
	v_and_b32_e32 v0, v22, v0
	v_mul_lo_u32 v1, v1, 24
	v_mul_hi_u32 v2, v0, 24
	v_mul_lo_u32 v0, v0, 24
	v_add_u32_e32 v1, v2, v1
	s_waitcnt vmcnt(0)
	v_add_co_u32_e32 v0, vcc, v18, v0
	v_addc_co_u32_e32 v1, vcc, v19, v1, vcc
	v_mov_b32_e32 v24, v6
	global_store_dwordx2 v[0:1], v[6:7], off
	v_mov_b32_e32 v25, v7
	buffer_wbl2
	s_waitcnt vmcnt(0)
	global_atomic_cmpswap_x2 v[24:25], v3, v[22:25], s[34:35] offset:24 glc
	s_waitcnt vmcnt(0)
	v_cmp_ne_u64_e32 vcc, v[24:25], v[6:7]
	s_and_b64 exec, exec, vcc
	s_cbranch_execz .LBB2_1147
; %bb.1145:                             ;   in Loop: Header=BB2_445 Depth=1
	s_mov_b64 s[4:5], 0
.LBB2_1146:                             ;   Parent Loop BB2_445 Depth=1
                                        ; =>  This Inner Loop Header: Depth=2
	s_sleep 1
	global_store_dwordx2 v[0:1], v[24:25], off
	buffer_wbl2
	s_waitcnt vmcnt(0)
	global_atomic_cmpswap_x2 v[6:7], v3, v[22:25], s[34:35] offset:24 glc
	s_waitcnt vmcnt(0)
	v_cmp_eq_u64_e32 vcc, v[6:7], v[24:25]
	s_or_b64 s[4:5], vcc, s[4:5]
	v_pk_mov_b32 v[24:25], v[6:7], v[6:7] op_sel:[0,1]
	s_andn2_b64 exec, exec, s[4:5]
	s_cbranch_execnz .LBB2_1146
.LBB2_1147:                             ;   in Loop: Header=BB2_445 Depth=1
	s_or_b64 exec, exec, s[22:23]
.LBB2_1148:                             ;   in Loop: Header=BB2_445 Depth=1
	v_readfirstlane_b32 s4, v43
	v_cmp_eq_u32_e64 s[4:5], s4, v43
	s_waitcnt vmcnt(0)
	v_pk_mov_b32 v[0:1], 0, 0
	s_and_saveexec_b64 s[20:21], s[4:5]
	s_cbranch_execz .LBB2_1154
; %bb.1149:                             ;   in Loop: Header=BB2_445 Depth=1
	global_load_dwordx2 v[24:25], v3, s[34:35] offset:24 glc
	s_waitcnt vmcnt(0)
	buffer_invl2
	buffer_wbinvl1_vol
	global_load_dwordx2 v[0:1], v3, s[34:35] offset:40
	global_load_dwordx2 v[6:7], v3, s[34:35]
	s_waitcnt vmcnt(1)
	v_and_b32_e32 v0, v0, v24
	v_and_b32_e32 v1, v1, v25
	v_mul_lo_u32 v1, v1, 24
	v_mul_hi_u32 v2, v0, 24
	v_mul_lo_u32 v0, v0, 24
	v_add_u32_e32 v1, v2, v1
	s_waitcnt vmcnt(0)
	v_add_co_u32_e32 v0, vcc, v6, v0
	v_addc_co_u32_e32 v1, vcc, v7, v1, vcc
	global_load_dwordx2 v[22:23], v[0:1], off glc
	s_waitcnt vmcnt(0)
	global_atomic_cmpswap_x2 v[0:1], v3, v[22:25], s[34:35] offset:24 glc
	s_waitcnt vmcnt(0)
	buffer_invl2
	buffer_wbinvl1_vol
	v_cmp_ne_u64_e32 vcc, v[0:1], v[24:25]
	s_and_saveexec_b64 s[22:23], vcc
	s_cbranch_execz .LBB2_1153
; %bb.1150:                             ;   in Loop: Header=BB2_445 Depth=1
	s_mov_b64 s[24:25], 0
.LBB2_1151:                             ;   Parent Loop BB2_445 Depth=1
                                        ; =>  This Inner Loop Header: Depth=2
	s_sleep 1
	global_load_dwordx2 v[6:7], v3, s[34:35] offset:40
	global_load_dwordx2 v[18:19], v3, s[34:35]
	v_pk_mov_b32 v[24:25], v[0:1], v[0:1] op_sel:[0,1]
	s_waitcnt vmcnt(1)
	v_and_b32_e32 v0, v6, v24
	s_waitcnt vmcnt(0)
	v_mad_u64_u32 v[0:1], s[36:37], v0, 24, v[18:19]
	v_and_b32_e32 v5, v7, v25
	v_mov_b32_e32 v2, v1
	v_mad_u64_u32 v[6:7], s[36:37], v5, 24, v[2:3]
	v_mov_b32_e32 v1, v6
	global_load_dwordx2 v[22:23], v[0:1], off glc
	s_waitcnt vmcnt(0)
	global_atomic_cmpswap_x2 v[0:1], v3, v[22:25], s[34:35] offset:24 glc
	s_waitcnt vmcnt(0)
	buffer_invl2
	buffer_wbinvl1_vol
	v_cmp_eq_u64_e32 vcc, v[0:1], v[24:25]
	s_or_b64 s[24:25], vcc, s[24:25]
	s_andn2_b64 exec, exec, s[24:25]
	s_cbranch_execnz .LBB2_1151
; %bb.1152:                             ;   in Loop: Header=BB2_445 Depth=1
	s_or_b64 exec, exec, s[24:25]
.LBB2_1153:                             ;   in Loop: Header=BB2_445 Depth=1
	s_or_b64 exec, exec, s[22:23]
.LBB2_1154:                             ;   in Loop: Header=BB2_445 Depth=1
	s_or_b64 exec, exec, s[20:21]
	global_load_dwordx2 v[6:7], v3, s[34:35] offset:40
	global_load_dwordx4 v[24:27], v3, s[34:35]
	v_readfirstlane_b32 s20, v0
	v_readfirstlane_b32 s21, v1
	s_mov_b64 s[22:23], exec
	s_waitcnt vmcnt(1)
	v_readfirstlane_b32 s24, v6
	v_readfirstlane_b32 s25, v7
	s_and_b64 s[24:25], s[20:21], s[24:25]
	s_mul_i32 s29, s25, 24
	s_mul_hi_u32 s36, s24, 24
	s_mul_i32 s37, s24, 24
	s_add_i32 s29, s36, s29
	v_mov_b32_e32 v1, s29
	s_waitcnt vmcnt(0)
	v_add_co_u32_e32 v0, vcc, s37, v24
	v_addc_co_u32_e32 v1, vcc, v25, v1, vcc
	s_and_saveexec_b64 s[36:37], s[4:5]
	s_cbranch_execz .LBB2_1156
; %bb.1155:                             ;   in Loop: Header=BB2_445 Depth=1
	v_pk_mov_b32 v[6:7], s[22:23], s[22:23] op_sel:[0,1]
	global_store_dwordx4 v[0:1], v[6:9], off offset:8
.LBB2_1156:                             ;   in Loop: Header=BB2_445 Depth=1
	s_or_b64 exec, exec, s[36:37]
	s_lshl_b64 s[22:23], s[24:25], 12
	v_mov_b32_e32 v5, s23
	v_add_co_u32_e32 v2, vcc, s22, v26
	v_addc_co_u32_e32 v5, vcc, v27, v5, vcc
	s_ashr_i32 s7, s7, 1
	v_and_or_b32 v20, v20, s48, 34
	v_mov_b32_e32 v22, s7
	v_mov_b32_e32 v23, v3
	v_readfirstlane_b32 s22, v2
	v_readfirstlane_b32 s23, v5
	s_nop 4
	global_store_dwordx4 v42, v[20:23], s[22:23]
	s_nop 0
	v_pk_mov_b32 v[20:21], s[10:11], s[10:11] op_sel:[0,1]
	v_pk_mov_b32 v[18:19], s[8:9], s[8:9] op_sel:[0,1]
	global_store_dwordx4 v42, v[18:21], s[22:23] offset:16
	global_store_dwordx4 v42, v[18:21], s[22:23] offset:32
	;; [unrolled: 1-line block ×3, first 2 shown]
	s_and_saveexec_b64 s[22:23], s[4:5]
	s_cbranch_execz .LBB2_1164
; %bb.1157:                             ;   in Loop: Header=BB2_445 Depth=1
	global_load_dwordx2 v[22:23], v3, s[34:35] offset:32 glc
	global_load_dwordx2 v[6:7], v3, s[34:35] offset:40
	v_mov_b32_e32 v20, s20
	v_mov_b32_e32 v21, s21
	s_waitcnt vmcnt(0)
	v_readfirstlane_b32 s24, v6
	v_readfirstlane_b32 s25, v7
	s_and_b64 s[24:25], s[24:25], s[20:21]
	s_mul_i32 s7, s25, 24
	s_mul_hi_u32 s25, s24, 24
	s_mul_i32 s24, s24, 24
	s_add_i32 s7, s25, s7
	v_mov_b32_e32 v2, s7
	v_add_co_u32_e32 v6, vcc, s24, v24
	v_addc_co_u32_e32 v7, vcc, v25, v2, vcc
	global_store_dwordx2 v[6:7], v[22:23], off
	buffer_wbl2
	s_waitcnt vmcnt(0)
	global_atomic_cmpswap_x2 v[20:21], v3, v[20:23], s[34:35] offset:32 glc
	s_waitcnt vmcnt(0)
	v_cmp_ne_u64_e32 vcc, v[20:21], v[22:23]
	s_and_saveexec_b64 s[24:25], vcc
	s_cbranch_execz .LBB2_1160
; %bb.1158:                             ;   in Loop: Header=BB2_445 Depth=1
	s_mov_b64 s[36:37], 0
.LBB2_1159:                             ;   Parent Loop BB2_445 Depth=1
                                        ; =>  This Inner Loop Header: Depth=2
	s_sleep 1
	global_store_dwordx2 v[6:7], v[20:21], off
	v_mov_b32_e32 v18, s20
	v_mov_b32_e32 v19, s21
	buffer_wbl2
	s_waitcnt vmcnt(0)
	global_atomic_cmpswap_x2 v[18:19], v3, v[18:21], s[34:35] offset:32 glc
	s_waitcnt vmcnt(0)
	v_cmp_eq_u64_e32 vcc, v[18:19], v[20:21]
	s_or_b64 s[36:37], vcc, s[36:37]
	v_pk_mov_b32 v[20:21], v[18:19], v[18:19] op_sel:[0,1]
	s_andn2_b64 exec, exec, s[36:37]
	s_cbranch_execnz .LBB2_1159
.LBB2_1160:                             ;   in Loop: Header=BB2_445 Depth=1
	s_or_b64 exec, exec, s[24:25]
	global_load_dwordx2 v[6:7], v3, s[34:35] offset:16
	s_mov_b64 s[36:37], exec
	v_mbcnt_lo_u32_b32 v2, s36, 0
	v_mbcnt_hi_u32_b32 v2, s37, v2
	v_cmp_eq_u32_e32 vcc, 0, v2
	s_and_saveexec_b64 s[24:25], vcc
	s_cbranch_execz .LBB2_1162
; %bb.1161:                             ;   in Loop: Header=BB2_445 Depth=1
	s_bcnt1_i32_b64 s7, s[36:37]
	v_mov_b32_e32 v2, s7
	buffer_wbl2
	s_waitcnt vmcnt(0)
	global_atomic_add_x2 v[6:7], v[2:3], off offset:8
.LBB2_1162:                             ;   in Loop: Header=BB2_445 Depth=1
	s_or_b64 exec, exec, s[24:25]
	s_waitcnt vmcnt(0)
	global_load_dwordx2 v[18:19], v[6:7], off offset:16
	s_waitcnt vmcnt(0)
	v_cmp_eq_u64_e32 vcc, 0, v[18:19]
	s_cbranch_vccnz .LBB2_1164
; %bb.1163:                             ;   in Loop: Header=BB2_445 Depth=1
	global_load_dword v2, v[6:7], off offset:24
	buffer_wbl2
	s_waitcnt vmcnt(0)
	global_store_dwordx2 v[18:19], v[2:3], off
	v_and_b32_e32 v2, 0xffffff, v2
	v_readfirstlane_b32 m0, v2
	s_sendmsg sendmsg(MSG_INTERRUPT)
.LBB2_1164:                             ;   in Loop: Header=BB2_445 Depth=1
	s_or_b64 exec, exec, s[22:23]
	s_branch .LBB2_1168
.LBB2_1165:                             ;   in Loop: Header=BB2_1168 Depth=2
	s_or_b64 exec, exec, s[22:23]
	v_readfirstlane_b32 s7, v2
	s_cmp_eq_u32 s7, 0
	s_cbranch_scc1 .LBB2_1167
; %bb.1166:                             ;   in Loop: Header=BB2_1168 Depth=2
	s_sleep 1
	s_cbranch_execnz .LBB2_1168
	s_branch .LBB2_1170
.LBB2_1167:                             ;   in Loop: Header=BB2_445 Depth=1
	s_branch .LBB2_1170
.LBB2_1168:                             ;   Parent Loop BB2_445 Depth=1
                                        ; =>  This Inner Loop Header: Depth=2
	v_mov_b32_e32 v2, 1
	s_and_saveexec_b64 s[22:23], s[4:5]
	s_cbranch_execz .LBB2_1165
; %bb.1169:                             ;   in Loop: Header=BB2_1168 Depth=2
	global_load_dword v2, v[0:1], off offset:20 glc
	s_waitcnt vmcnt(0)
	buffer_invl2
	buffer_wbinvl1_vol
	v_and_b32_e32 v2, 1, v2
	s_branch .LBB2_1165
.LBB2_1170:                             ;   in Loop: Header=BB2_445 Depth=1
	s_and_saveexec_b64 s[22:23], s[4:5]
	s_cbranch_execz .LBB2_444
; %bb.1171:                             ;   in Loop: Header=BB2_445 Depth=1
	global_load_dwordx2 v[0:1], v3, s[34:35] offset:40
	global_load_dwordx2 v[6:7], v3, s[34:35] offset:24 glc
	global_load_dwordx2 v[22:23], v3, s[34:35]
	v_mov_b32_e32 v2, s21
	s_waitcnt vmcnt(2)
	v_add_co_u32_e32 v5, vcc, 1, v0
	v_addc_co_u32_e32 v21, vcc, 0, v1, vcc
	v_add_co_u32_e32 v18, vcc, s20, v5
	v_addc_co_u32_e32 v19, vcc, v21, v2, vcc
	v_cmp_eq_u64_e32 vcc, 0, v[18:19]
	v_cndmask_b32_e32 v19, v19, v21, vcc
	v_cndmask_b32_e32 v18, v18, v5, vcc
	v_and_b32_e32 v1, v19, v1
	v_and_b32_e32 v0, v18, v0
	v_mul_lo_u32 v1, v1, 24
	v_mul_hi_u32 v2, v0, 24
	v_mul_lo_u32 v0, v0, 24
	v_add_u32_e32 v1, v2, v1
	s_waitcnt vmcnt(0)
	v_add_co_u32_e32 v0, vcc, v22, v0
	v_addc_co_u32_e32 v1, vcc, v23, v1, vcc
	v_mov_b32_e32 v20, v6
	global_store_dwordx2 v[0:1], v[6:7], off
	v_mov_b32_e32 v21, v7
	buffer_wbl2
	s_waitcnt vmcnt(0)
	global_atomic_cmpswap_x2 v[20:21], v3, v[18:21], s[34:35] offset:24 glc
	s_waitcnt vmcnt(0)
	v_cmp_ne_u64_e32 vcc, v[20:21], v[6:7]
	s_and_b64 exec, exec, vcc
	s_cbranch_execz .LBB2_444
; %bb.1172:                             ;   in Loop: Header=BB2_445 Depth=1
	s_mov_b64 s[4:5], 0
.LBB2_1173:                             ;   Parent Loop BB2_445 Depth=1
                                        ; =>  This Inner Loop Header: Depth=2
	s_sleep 1
	global_store_dwordx2 v[0:1], v[20:21], off
	buffer_wbl2
	s_waitcnt vmcnt(0)
	global_atomic_cmpswap_x2 v[6:7], v3, v[18:21], s[34:35] offset:24 glc
	s_waitcnt vmcnt(0)
	v_cmp_eq_u64_e32 vcc, v[6:7], v[20:21]
	s_or_b64 s[4:5], vcc, s[4:5]
	v_pk_mov_b32 v[20:21], v[6:7], v[6:7] op_sel:[0,1]
	s_andn2_b64 exec, exec, s[4:5]
	s_cbranch_execnz .LBB2_1173
	s_branch .LBB2_444
.LBB2_1174:
	s_waitcnt lgkmcnt(0)
	v_readfirstlane_b32 s4, v43
	v_cmp_eq_u32_e64 s[4:5], s4, v43
	s_waitcnt vmcnt(0)
	v_pk_mov_b32 v[6:7], 0, 0
	s_and_saveexec_b64 s[6:7], s[4:5]
	s_cbranch_execz .LBB2_1180
; %bb.1175:
	v_mov_b32_e32 v0, 0
	global_load_dwordx2 v[4:5], v0, s[34:35] offset:24 glc
	s_waitcnt vmcnt(0)
	buffer_invl2
	buffer_wbinvl1_vol
	global_load_dwordx2 v[2:3], v0, s[34:35] offset:40
	global_load_dwordx2 v[6:7], v0, s[34:35]
	s_waitcnt vmcnt(1)
	v_and_b32_e32 v1, v2, v4
	v_and_b32_e32 v2, v3, v5
	v_mul_lo_u32 v2, v2, 24
	v_mul_hi_u32 v3, v1, 24
	v_mul_lo_u32 v1, v1, 24
	v_add_u32_e32 v3, v3, v2
	s_waitcnt vmcnt(0)
	v_add_co_u32_e32 v2, vcc, v6, v1
	v_addc_co_u32_e32 v3, vcc, v7, v3, vcc
	global_load_dwordx2 v[2:3], v[2:3], off glc
	s_waitcnt vmcnt(0)
	global_atomic_cmpswap_x2 v[6:7], v0, v[2:5], s[34:35] offset:24 glc
	s_waitcnt vmcnt(0)
	buffer_invl2
	buffer_wbinvl1_vol
	v_cmp_ne_u64_e32 vcc, v[6:7], v[4:5]
	s_and_saveexec_b64 s[8:9], vcc
	s_cbranch_execz .LBB2_1179
; %bb.1176:
	s_mov_b64 s[10:11], 0
.LBB2_1177:                             ; =>This Inner Loop Header: Depth=1
	s_sleep 1
	global_load_dwordx2 v[2:3], v0, s[34:35] offset:40
	global_load_dwordx2 v[8:9], v0, s[34:35]
	v_pk_mov_b32 v[4:5], v[6:7], v[6:7] op_sel:[0,1]
	s_waitcnt vmcnt(1)
	v_and_b32_e32 v2, v2, v4
	v_and_b32_e32 v1, v3, v5
	s_waitcnt vmcnt(0)
	v_mad_u64_u32 v[2:3], s[14:15], v2, 24, v[8:9]
	v_mov_b32_e32 v6, v3
	v_mad_u64_u32 v[6:7], s[14:15], v1, 24, v[6:7]
	v_mov_b32_e32 v3, v6
	global_load_dwordx2 v[2:3], v[2:3], off glc
	s_waitcnt vmcnt(0)
	global_atomic_cmpswap_x2 v[6:7], v0, v[2:5], s[34:35] offset:24 glc
	s_waitcnt vmcnt(0)
	buffer_invl2
	buffer_wbinvl1_vol
	v_cmp_eq_u64_e32 vcc, v[6:7], v[4:5]
	s_or_b64 s[10:11], vcc, s[10:11]
	s_andn2_b64 exec, exec, s[10:11]
	s_cbranch_execnz .LBB2_1177
; %bb.1178:
	s_or_b64 exec, exec, s[10:11]
.LBB2_1179:
	s_or_b64 exec, exec, s[8:9]
.LBB2_1180:
	s_or_b64 exec, exec, s[6:7]
	v_mov_b32_e32 v5, 0
	global_load_dwordx2 v[8:9], v5, s[34:35] offset:40
	global_load_dwordx4 v[0:3], v5, s[34:35]
	v_readfirstlane_b32 s6, v6
	v_readfirstlane_b32 s7, v7
	s_mov_b64 s[8:9], exec
	s_waitcnt vmcnt(1)
	v_readfirstlane_b32 s10, v8
	v_readfirstlane_b32 s11, v9
	s_and_b64 s[10:11], s[6:7], s[10:11]
	s_mul_i32 s14, s11, 24
	s_mul_hi_u32 s15, s10, 24
	s_mul_i32 s16, s10, 24
	s_add_i32 s14, s15, s14
	v_mov_b32_e32 v4, s14
	s_waitcnt vmcnt(0)
	v_add_co_u32_e32 v8, vcc, s16, v0
	v_addc_co_u32_e32 v9, vcc, v1, v4, vcc
	s_and_saveexec_b64 s[14:15], s[4:5]
	s_cbranch_execz .LBB2_1182
; %bb.1181:
	v_pk_mov_b32 v[10:11], s[8:9], s[8:9] op_sel:[0,1]
	v_mov_b32_e32 v12, 2
	v_mov_b32_e32 v13, 1
	global_store_dwordx4 v[8:9], v[10:13], off offset:8
.LBB2_1182:
	s_or_b64 exec, exec, s[14:15]
	s_lshl_b64 s[8:9], s[10:11], 12
	v_mov_b32_e32 v4, s9
	v_add_co_u32_e32 v2, vcc, s8, v2
	v_addc_co_u32_e32 v3, vcc, v3, v4, vcc
	s_mov_b32 s8, 0
	v_add_co_u32_e32 v10, vcc, v2, v42
	v_mov_b32_e32 v4, 33
	v_mov_b32_e32 v6, v5
	;; [unrolled: 1-line block ×3, first 2 shown]
	v_readfirstlane_b32 s14, v2
	v_readfirstlane_b32 s15, v3
	s_mov_b32 s9, s8
	v_addc_co_u32_e32 v11, vcc, 0, v3, vcc
	s_mov_b32 s10, s8
	s_mov_b32 s11, s8
	s_nop 0
	global_store_dwordx4 v42, v[4:7], s[14:15]
	v_pk_mov_b32 v[2:3], s[8:9], s[8:9] op_sel:[0,1]
	v_pk_mov_b32 v[4:5], s[10:11], s[10:11] op_sel:[0,1]
	global_store_dwordx4 v42, v[2:5], s[14:15] offset:16
	global_store_dwordx4 v42, v[2:5], s[14:15] offset:32
	;; [unrolled: 1-line block ×3, first 2 shown]
	s_and_saveexec_b64 s[8:9], s[4:5]
	s_cbranch_execz .LBB2_1190
; %bb.1183:
	v_mov_b32_e32 v6, 0
	global_load_dwordx2 v[14:15], v6, s[34:35] offset:32 glc
	global_load_dwordx2 v[2:3], v6, s[34:35] offset:40
	v_mov_b32_e32 v12, s6
	v_mov_b32_e32 v13, s7
	s_waitcnt vmcnt(0)
	v_readfirstlane_b32 s10, v2
	v_readfirstlane_b32 s11, v3
	s_and_b64 s[10:11], s[10:11], s[6:7]
	s_mul_i32 s11, s11, 24
	s_mul_hi_u32 s14, s10, 24
	s_mul_i32 s10, s10, 24
	s_add_i32 s11, s14, s11
	v_mov_b32_e32 v2, s11
	v_add_co_u32_e32 v4, vcc, s10, v0
	v_addc_co_u32_e32 v5, vcc, v1, v2, vcc
	global_store_dwordx2 v[4:5], v[14:15], off
	buffer_wbl2
	s_waitcnt vmcnt(0)
	global_atomic_cmpswap_x2 v[2:3], v6, v[12:15], s[34:35] offset:32 glc
	s_waitcnt vmcnt(0)
	v_cmp_ne_u64_e32 vcc, v[2:3], v[14:15]
	s_and_saveexec_b64 s[10:11], vcc
	s_cbranch_execz .LBB2_1186
; %bb.1184:
	s_mov_b64 s[14:15], 0
.LBB2_1185:                             ; =>This Inner Loop Header: Depth=1
	s_sleep 1
	global_store_dwordx2 v[4:5], v[2:3], off
	v_mov_b32_e32 v0, s6
	v_mov_b32_e32 v1, s7
	buffer_wbl2
	s_waitcnt vmcnt(0)
	global_atomic_cmpswap_x2 v[0:1], v6, v[0:3], s[34:35] offset:32 glc
	s_waitcnt vmcnt(0)
	v_cmp_eq_u64_e32 vcc, v[0:1], v[2:3]
	s_or_b64 s[14:15], vcc, s[14:15]
	v_pk_mov_b32 v[2:3], v[0:1], v[0:1] op_sel:[0,1]
	s_andn2_b64 exec, exec, s[14:15]
	s_cbranch_execnz .LBB2_1185
.LBB2_1186:
	s_or_b64 exec, exec, s[10:11]
	v_mov_b32_e32 v3, 0
	global_load_dwordx2 v[0:1], v3, s[34:35] offset:16
	s_mov_b64 s[10:11], exec
	v_mbcnt_lo_u32_b32 v2, s10, 0
	v_mbcnt_hi_u32_b32 v2, s11, v2
	v_cmp_eq_u32_e32 vcc, 0, v2
	s_and_saveexec_b64 s[14:15], vcc
	s_cbranch_execz .LBB2_1188
; %bb.1187:
	s_bcnt1_i32_b64 s10, s[10:11]
	v_mov_b32_e32 v2, s10
	buffer_wbl2
	s_waitcnt vmcnt(0)
	global_atomic_add_x2 v[0:1], v[2:3], off offset:8
.LBB2_1188:
	s_or_b64 exec, exec, s[14:15]
	s_waitcnt vmcnt(0)
	global_load_dwordx2 v[2:3], v[0:1], off offset:16
	s_waitcnt vmcnt(0)
	v_cmp_eq_u64_e32 vcc, 0, v[2:3]
	s_cbranch_vccnz .LBB2_1190
; %bb.1189:
	global_load_dword v0, v[0:1], off offset:24
	v_mov_b32_e32 v1, 0
	buffer_wbl2
	s_waitcnt vmcnt(0)
	global_store_dwordx2 v[2:3], v[0:1], off
	v_and_b32_e32 v0, 0xffffff, v0
	v_readfirstlane_b32 m0, v0
	s_sendmsg sendmsg(MSG_INTERRUPT)
.LBB2_1190:
	s_or_b64 exec, exec, s[8:9]
	s_branch .LBB2_1194
.LBB2_1191:                             ;   in Loop: Header=BB2_1194 Depth=1
	s_or_b64 exec, exec, s[8:9]
	v_readfirstlane_b32 s8, v0
	s_cmp_eq_u32 s8, 0
	s_cbranch_scc1 .LBB2_1193
; %bb.1192:                             ;   in Loop: Header=BB2_1194 Depth=1
	s_sleep 1
	s_cbranch_execnz .LBB2_1194
	s_branch .LBB2_1196
.LBB2_1193:
	s_branch .LBB2_1196
.LBB2_1194:                             ; =>This Inner Loop Header: Depth=1
	v_mov_b32_e32 v0, 1
	s_and_saveexec_b64 s[8:9], s[4:5]
	s_cbranch_execz .LBB2_1191
; %bb.1195:                             ;   in Loop: Header=BB2_1194 Depth=1
	global_load_dword v0, v[8:9], off offset:20 glc
	s_waitcnt vmcnt(0)
	buffer_invl2
	buffer_wbinvl1_vol
	v_and_b32_e32 v0, 1, v0
	s_branch .LBB2_1191
.LBB2_1196:
	global_load_dwordx2 v[0:1], v[10:11], off
	s_and_saveexec_b64 s[8:9], s[4:5]
	s_cbranch_execz .LBB2_1199
; %bb.1197:
	v_mov_b32_e32 v8, 0
	global_load_dwordx2 v[6:7], v8, s[34:35] offset:40
	global_load_dwordx2 v[10:11], v8, s[34:35] offset:24 glc
	global_load_dwordx2 v[12:13], v8, s[34:35]
	v_mov_b32_e32 v3, s7
	s_mov_b64 s[4:5], 0
	s_waitcnt vmcnt(2)
	v_add_co_u32_e32 v5, vcc, 1, v6
	v_addc_co_u32_e32 v9, vcc, 0, v7, vcc
	v_add_co_u32_e32 v2, vcc, s6, v5
	v_addc_co_u32_e32 v3, vcc, v9, v3, vcc
	v_cmp_eq_u64_e32 vcc, 0, v[2:3]
	v_cndmask_b32_e32 v3, v3, v9, vcc
	v_cndmask_b32_e32 v2, v2, v5, vcc
	v_and_b32_e32 v5, v3, v7
	v_and_b32_e32 v6, v2, v6
	v_mul_lo_u32 v5, v5, 24
	v_mul_hi_u32 v7, v6, 24
	v_mul_lo_u32 v6, v6, 24
	v_add_u32_e32 v5, v7, v5
	s_waitcnt vmcnt(0)
	v_add_co_u32_e32 v6, vcc, v12, v6
	v_addc_co_u32_e32 v7, vcc, v13, v5, vcc
	v_mov_b32_e32 v4, v10
	global_store_dwordx2 v[6:7], v[10:11], off
	v_mov_b32_e32 v5, v11
	buffer_wbl2
	s_waitcnt vmcnt(0)
	global_atomic_cmpswap_x2 v[4:5], v8, v[2:5], s[34:35] offset:24 glc
	s_waitcnt vmcnt(0)
	v_cmp_ne_u64_e32 vcc, v[4:5], v[10:11]
	s_and_b64 exec, exec, vcc
	s_cbranch_execz .LBB2_1199
.LBB2_1198:                             ; =>This Inner Loop Header: Depth=1
	s_sleep 1
	global_store_dwordx2 v[6:7], v[4:5], off
	buffer_wbl2
	s_waitcnt vmcnt(0)
	global_atomic_cmpswap_x2 v[10:11], v8, v[2:5], s[34:35] offset:24 glc
	s_waitcnt vmcnt(0)
	v_cmp_eq_u64_e32 vcc, v[10:11], v[4:5]
	s_or_b64 s[4:5], vcc, s[4:5]
	v_pk_mov_b32 v[4:5], v[10:11], v[10:11] op_sel:[0,1]
	s_andn2_b64 exec, exec, s[4:5]
	s_cbranch_execnz .LBB2_1198
.LBB2_1199:
	s_or_b64 exec, exec, s[8:9]
	s_getpc_b64 s[6:7]
	s_add_u32 s6, s6, .str.8@rel32@lo+4
	s_addc_u32 s7, s7, .str.8@rel32@hi+12
	s_cmp_lg_u64 s[6:7], 0
	s_cbranch_scc0 .LBB2_1284
; %bb.1200:
	s_waitcnt vmcnt(0)
	v_and_b32_e32 v6, -3, v0
	v_mov_b32_e32 v7, v1
	s_mov_b64 s[8:9], 11
	v_mov_b32_e32 v27, 0
	v_mov_b32_e32 v4, 2
	;; [unrolled: 1-line block ×3, first 2 shown]
	s_branch .LBB2_1202
.LBB2_1201:                             ;   in Loop: Header=BB2_1202 Depth=1
	s_or_b64 exec, exec, s[16:17]
	s_sub_u32 s8, s8, s10
	s_subb_u32 s9, s9, s11
	s_add_u32 s6, s6, s10
	s_addc_u32 s7, s7, s11
	s_cmp_lg_u64 s[8:9], 0
	s_cbranch_scc0 .LBB2_1283
.LBB2_1202:                             ; =>This Loop Header: Depth=1
                                        ;     Child Loop BB2_1205 Depth 2
                                        ;     Child Loop BB2_1212 Depth 2
	;; [unrolled: 1-line block ×11, first 2 shown]
	v_cmp_lt_u64_e64 s[4:5], s[8:9], 56
	s_and_b64 s[4:5], s[4:5], exec
	v_cmp_gt_u64_e64 s[4:5], s[8:9], 7
	s_cselect_b32 s11, s9, 0
	s_cselect_b32 s10, s8, 56
	s_and_b64 vcc, exec, s[4:5]
	s_cbranch_vccnz .LBB2_1207
; %bb.1203:                             ;   in Loop: Header=BB2_1202 Depth=1
	s_mov_b64 s[4:5], 0
	s_cmp_eq_u64 s[8:9], 0
	s_waitcnt vmcnt(0)
	v_pk_mov_b32 v[8:9], 0, 0
	s_cbranch_scc1 .LBB2_1206
; %bb.1204:                             ;   in Loop: Header=BB2_1202 Depth=1
	s_lshl_b64 s[14:15], s[10:11], 3
	s_mov_b64 s[16:17], 0
	v_pk_mov_b32 v[8:9], 0, 0
	s_mov_b64 s[18:19], s[6:7]
.LBB2_1205:                             ;   Parent Loop BB2_1202 Depth=1
                                        ; =>  This Inner Loop Header: Depth=2
	global_load_ubyte v2, v27, s[18:19]
	s_waitcnt vmcnt(0)
	v_and_b32_e32 v26, 0xffff, v2
	v_lshlrev_b64 v[2:3], s16, v[26:27]
	s_add_u32 s16, s16, 8
	s_addc_u32 s17, s17, 0
	s_add_u32 s18, s18, 1
	s_addc_u32 s19, s19, 0
	v_or_b32_e32 v8, v2, v8
	s_cmp_lg_u32 s14, s16
	v_or_b32_e32 v9, v3, v9
	s_cbranch_scc1 .LBB2_1205
.LBB2_1206:                             ;   in Loop: Header=BB2_1202 Depth=1
	s_mov_b32 s18, 0
	s_andn2_b64 vcc, exec, s[4:5]
	s_mov_b64 s[4:5], s[6:7]
	s_cbranch_vccz .LBB2_1208
	s_branch .LBB2_1209
.LBB2_1207:                             ;   in Loop: Header=BB2_1202 Depth=1
                                        ; implicit-def: $sgpr18
	s_mov_b64 s[4:5], s[6:7]
.LBB2_1208:                             ;   in Loop: Header=BB2_1202 Depth=1
	global_load_dwordx2 v[8:9], v27, s[6:7]
	s_add_i32 s18, s10, -8
	s_add_u32 s4, s6, 8
	s_addc_u32 s5, s7, 0
.LBB2_1209:                             ;   in Loop: Header=BB2_1202 Depth=1
	s_cmp_gt_u32 s18, 7
	s_cbranch_scc1 .LBB2_1213
; %bb.1210:                             ;   in Loop: Header=BB2_1202 Depth=1
	s_cmp_eq_u32 s18, 0
	s_cbranch_scc1 .LBB2_1214
; %bb.1211:                             ;   in Loop: Header=BB2_1202 Depth=1
	s_mov_b64 s[14:15], 0
	v_pk_mov_b32 v[10:11], 0, 0
	s_mov_b64 s[16:17], 0
.LBB2_1212:                             ;   Parent Loop BB2_1202 Depth=1
                                        ; =>  This Inner Loop Header: Depth=2
	s_add_u32 s20, s4, s16
	s_addc_u32 s21, s5, s17
	global_load_ubyte v2, v27, s[20:21]
	s_add_u32 s16, s16, 1
	s_addc_u32 s17, s17, 0
	s_waitcnt vmcnt(0)
	v_and_b32_e32 v26, 0xffff, v2
	v_lshlrev_b64 v[2:3], s14, v[26:27]
	s_add_u32 s14, s14, 8
	s_addc_u32 s15, s15, 0
	v_or_b32_e32 v10, v2, v10
	s_cmp_lg_u32 s18, s16
	v_or_b32_e32 v11, v3, v11
	s_cbranch_scc1 .LBB2_1212
	s_branch .LBB2_1215
.LBB2_1213:                             ;   in Loop: Header=BB2_1202 Depth=1
                                        ; implicit-def: $vgpr10_vgpr11
                                        ; implicit-def: $sgpr19
	s_branch .LBB2_1216
.LBB2_1214:                             ;   in Loop: Header=BB2_1202 Depth=1
	v_pk_mov_b32 v[10:11], 0, 0
.LBB2_1215:                             ;   in Loop: Header=BB2_1202 Depth=1
	s_mov_b32 s19, 0
	s_cbranch_execnz .LBB2_1217
.LBB2_1216:                             ;   in Loop: Header=BB2_1202 Depth=1
	global_load_dwordx2 v[10:11], v27, s[4:5]
	s_add_i32 s19, s18, -8
	s_add_u32 s4, s4, 8
	s_addc_u32 s5, s5, 0
.LBB2_1217:                             ;   in Loop: Header=BB2_1202 Depth=1
	s_cmp_gt_u32 s19, 7
	s_cbranch_scc1 .LBB2_1221
; %bb.1218:                             ;   in Loop: Header=BB2_1202 Depth=1
	s_cmp_eq_u32 s19, 0
	s_cbranch_scc1 .LBB2_1222
; %bb.1219:                             ;   in Loop: Header=BB2_1202 Depth=1
	s_mov_b64 s[14:15], 0
	v_pk_mov_b32 v[12:13], 0, 0
	s_mov_b64 s[16:17], 0
.LBB2_1220:                             ;   Parent Loop BB2_1202 Depth=1
                                        ; =>  This Inner Loop Header: Depth=2
	s_add_u32 s20, s4, s16
	s_addc_u32 s21, s5, s17
	global_load_ubyte v2, v27, s[20:21]
	s_add_u32 s16, s16, 1
	s_addc_u32 s17, s17, 0
	s_waitcnt vmcnt(0)
	v_and_b32_e32 v26, 0xffff, v2
	v_lshlrev_b64 v[2:3], s14, v[26:27]
	s_add_u32 s14, s14, 8
	s_addc_u32 s15, s15, 0
	v_or_b32_e32 v12, v2, v12
	s_cmp_lg_u32 s19, s16
	v_or_b32_e32 v13, v3, v13
	s_cbranch_scc1 .LBB2_1220
	s_branch .LBB2_1223
.LBB2_1221:                             ;   in Loop: Header=BB2_1202 Depth=1
                                        ; implicit-def: $sgpr18
	s_branch .LBB2_1224
.LBB2_1222:                             ;   in Loop: Header=BB2_1202 Depth=1
	v_pk_mov_b32 v[12:13], 0, 0
.LBB2_1223:                             ;   in Loop: Header=BB2_1202 Depth=1
	s_mov_b32 s18, 0
	s_cbranch_execnz .LBB2_1225
.LBB2_1224:                             ;   in Loop: Header=BB2_1202 Depth=1
	global_load_dwordx2 v[12:13], v27, s[4:5]
	s_add_i32 s18, s19, -8
	s_add_u32 s4, s4, 8
	s_addc_u32 s5, s5, 0
.LBB2_1225:                             ;   in Loop: Header=BB2_1202 Depth=1
	s_cmp_gt_u32 s18, 7
	s_cbranch_scc1 .LBB2_1229
; %bb.1226:                             ;   in Loop: Header=BB2_1202 Depth=1
	s_cmp_eq_u32 s18, 0
	s_cbranch_scc1 .LBB2_1230
; %bb.1227:                             ;   in Loop: Header=BB2_1202 Depth=1
	s_mov_b64 s[14:15], 0
	v_pk_mov_b32 v[14:15], 0, 0
	s_mov_b64 s[16:17], 0
.LBB2_1228:                             ;   Parent Loop BB2_1202 Depth=1
                                        ; =>  This Inner Loop Header: Depth=2
	s_add_u32 s20, s4, s16
	s_addc_u32 s21, s5, s17
	global_load_ubyte v2, v27, s[20:21]
	s_add_u32 s16, s16, 1
	s_addc_u32 s17, s17, 0
	s_waitcnt vmcnt(0)
	v_and_b32_e32 v26, 0xffff, v2
	v_lshlrev_b64 v[2:3], s14, v[26:27]
	s_add_u32 s14, s14, 8
	s_addc_u32 s15, s15, 0
	v_or_b32_e32 v14, v2, v14
	s_cmp_lg_u32 s18, s16
	v_or_b32_e32 v15, v3, v15
	s_cbranch_scc1 .LBB2_1228
	s_branch .LBB2_1231
.LBB2_1229:                             ;   in Loop: Header=BB2_1202 Depth=1
                                        ; implicit-def: $vgpr14_vgpr15
                                        ; implicit-def: $sgpr19
	s_branch .LBB2_1232
.LBB2_1230:                             ;   in Loop: Header=BB2_1202 Depth=1
	v_pk_mov_b32 v[14:15], 0, 0
.LBB2_1231:                             ;   in Loop: Header=BB2_1202 Depth=1
	s_mov_b32 s19, 0
	s_cbranch_execnz .LBB2_1233
.LBB2_1232:                             ;   in Loop: Header=BB2_1202 Depth=1
	global_load_dwordx2 v[14:15], v27, s[4:5]
	s_add_i32 s19, s18, -8
	s_add_u32 s4, s4, 8
	s_addc_u32 s5, s5, 0
.LBB2_1233:                             ;   in Loop: Header=BB2_1202 Depth=1
	s_cmp_gt_u32 s19, 7
	s_cbranch_scc1 .LBB2_1237
; %bb.1234:                             ;   in Loop: Header=BB2_1202 Depth=1
	s_cmp_eq_u32 s19, 0
	s_cbranch_scc1 .LBB2_1238
; %bb.1235:                             ;   in Loop: Header=BB2_1202 Depth=1
	s_mov_b64 s[14:15], 0
	v_pk_mov_b32 v[16:17], 0, 0
	s_mov_b64 s[16:17], 0
.LBB2_1236:                             ;   Parent Loop BB2_1202 Depth=1
                                        ; =>  This Inner Loop Header: Depth=2
	s_add_u32 s20, s4, s16
	s_addc_u32 s21, s5, s17
	global_load_ubyte v2, v27, s[20:21]
	s_add_u32 s16, s16, 1
	s_addc_u32 s17, s17, 0
	s_waitcnt vmcnt(0)
	v_and_b32_e32 v26, 0xffff, v2
	v_lshlrev_b64 v[2:3], s14, v[26:27]
	s_add_u32 s14, s14, 8
	s_addc_u32 s15, s15, 0
	v_or_b32_e32 v16, v2, v16
	s_cmp_lg_u32 s19, s16
	v_or_b32_e32 v17, v3, v17
	s_cbranch_scc1 .LBB2_1236
	s_branch .LBB2_1239
.LBB2_1237:                             ;   in Loop: Header=BB2_1202 Depth=1
                                        ; implicit-def: $sgpr18
	s_branch .LBB2_1240
.LBB2_1238:                             ;   in Loop: Header=BB2_1202 Depth=1
	v_pk_mov_b32 v[16:17], 0, 0
.LBB2_1239:                             ;   in Loop: Header=BB2_1202 Depth=1
	s_mov_b32 s18, 0
	s_cbranch_execnz .LBB2_1241
.LBB2_1240:                             ;   in Loop: Header=BB2_1202 Depth=1
	global_load_dwordx2 v[16:17], v27, s[4:5]
	s_add_i32 s18, s19, -8
	s_add_u32 s4, s4, 8
	s_addc_u32 s5, s5, 0
.LBB2_1241:                             ;   in Loop: Header=BB2_1202 Depth=1
	s_cmp_gt_u32 s18, 7
	s_cbranch_scc1 .LBB2_1245
; %bb.1242:                             ;   in Loop: Header=BB2_1202 Depth=1
	s_cmp_eq_u32 s18, 0
	s_cbranch_scc1 .LBB2_1246
; %bb.1243:                             ;   in Loop: Header=BB2_1202 Depth=1
	s_mov_b64 s[14:15], 0
	v_pk_mov_b32 v[18:19], 0, 0
	s_mov_b64 s[16:17], 0
.LBB2_1244:                             ;   Parent Loop BB2_1202 Depth=1
                                        ; =>  This Inner Loop Header: Depth=2
	s_add_u32 s20, s4, s16
	s_addc_u32 s21, s5, s17
	global_load_ubyte v2, v27, s[20:21]
	s_add_u32 s16, s16, 1
	s_addc_u32 s17, s17, 0
	s_waitcnt vmcnt(0)
	v_and_b32_e32 v26, 0xffff, v2
	v_lshlrev_b64 v[2:3], s14, v[26:27]
	s_add_u32 s14, s14, 8
	s_addc_u32 s15, s15, 0
	v_or_b32_e32 v18, v2, v18
	s_cmp_lg_u32 s18, s16
	v_or_b32_e32 v19, v3, v19
	s_cbranch_scc1 .LBB2_1244
	s_branch .LBB2_1247
.LBB2_1245:                             ;   in Loop: Header=BB2_1202 Depth=1
                                        ; implicit-def: $vgpr18_vgpr19
                                        ; implicit-def: $sgpr19
	s_branch .LBB2_1248
.LBB2_1246:                             ;   in Loop: Header=BB2_1202 Depth=1
	v_pk_mov_b32 v[18:19], 0, 0
.LBB2_1247:                             ;   in Loop: Header=BB2_1202 Depth=1
	s_mov_b32 s19, 0
	s_cbranch_execnz .LBB2_1249
.LBB2_1248:                             ;   in Loop: Header=BB2_1202 Depth=1
	global_load_dwordx2 v[18:19], v27, s[4:5]
	s_add_i32 s19, s18, -8
	s_add_u32 s4, s4, 8
	s_addc_u32 s5, s5, 0
.LBB2_1249:                             ;   in Loop: Header=BB2_1202 Depth=1
	s_cmp_gt_u32 s19, 7
	s_cbranch_scc1 .LBB2_1253
; %bb.1250:                             ;   in Loop: Header=BB2_1202 Depth=1
	s_cmp_eq_u32 s19, 0
	s_cbranch_scc1 .LBB2_1254
; %bb.1251:                             ;   in Loop: Header=BB2_1202 Depth=1
	s_mov_b64 s[14:15], 0
	v_pk_mov_b32 v[20:21], 0, 0
	s_mov_b64 s[16:17], s[4:5]
.LBB2_1252:                             ;   Parent Loop BB2_1202 Depth=1
                                        ; =>  This Inner Loop Header: Depth=2
	global_load_ubyte v2, v27, s[16:17]
	s_add_i32 s19, s19, -1
	s_waitcnt vmcnt(0)
	v_and_b32_e32 v26, 0xffff, v2
	v_lshlrev_b64 v[2:3], s14, v[26:27]
	s_add_u32 s14, s14, 8
	s_addc_u32 s15, s15, 0
	s_add_u32 s16, s16, 1
	s_addc_u32 s17, s17, 0
	v_or_b32_e32 v20, v2, v20
	s_cmp_lg_u32 s19, 0
	v_or_b32_e32 v21, v3, v21
	s_cbranch_scc1 .LBB2_1252
	s_branch .LBB2_1255
.LBB2_1253:                             ;   in Loop: Header=BB2_1202 Depth=1
	s_branch .LBB2_1256
.LBB2_1254:                             ;   in Loop: Header=BB2_1202 Depth=1
	v_pk_mov_b32 v[20:21], 0, 0
.LBB2_1255:                             ;   in Loop: Header=BB2_1202 Depth=1
	s_cbranch_execnz .LBB2_1257
.LBB2_1256:                             ;   in Loop: Header=BB2_1202 Depth=1
	global_load_dwordx2 v[20:21], v27, s[4:5]
.LBB2_1257:                             ;   in Loop: Header=BB2_1202 Depth=1
	v_readfirstlane_b32 s4, v43
	v_cmp_eq_u32_e64 s[4:5], s4, v43
	v_pk_mov_b32 v[2:3], 0, 0
	s_and_saveexec_b64 s[14:15], s[4:5]
	s_cbranch_execz .LBB2_1263
; %bb.1258:                             ;   in Loop: Header=BB2_1202 Depth=1
	global_load_dwordx2 v[24:25], v27, s[34:35] offset:24 glc
	s_waitcnt vmcnt(0)
	buffer_invl2
	buffer_wbinvl1_vol
	global_load_dwordx2 v[2:3], v27, s[34:35] offset:40
	global_load_dwordx2 v[22:23], v27, s[34:35]
	s_waitcnt vmcnt(1)
	v_and_b32_e32 v2, v2, v24
	v_and_b32_e32 v3, v3, v25
	v_mul_lo_u32 v3, v3, 24
	v_mul_hi_u32 v26, v2, 24
	v_mul_lo_u32 v2, v2, 24
	v_add_u32_e32 v3, v26, v3
	s_waitcnt vmcnt(0)
	v_add_co_u32_e32 v2, vcc, v22, v2
	v_addc_co_u32_e32 v3, vcc, v23, v3, vcc
	global_load_dwordx2 v[22:23], v[2:3], off glc
	s_waitcnt vmcnt(0)
	global_atomic_cmpswap_x2 v[2:3], v27, v[22:25], s[34:35] offset:24 glc
	s_waitcnt vmcnt(0)
	buffer_invl2
	buffer_wbinvl1_vol
	v_cmp_ne_u64_e32 vcc, v[2:3], v[24:25]
	s_and_saveexec_b64 s[16:17], vcc
	s_cbranch_execz .LBB2_1262
; %bb.1259:                             ;   in Loop: Header=BB2_1202 Depth=1
	s_mov_b64 s[18:19], 0
.LBB2_1260:                             ;   Parent Loop BB2_1202 Depth=1
                                        ; =>  This Inner Loop Header: Depth=2
	s_sleep 1
	global_load_dwordx2 v[22:23], v27, s[34:35] offset:40
	global_load_dwordx2 v[28:29], v27, s[34:35]
	v_pk_mov_b32 v[24:25], v[2:3], v[2:3] op_sel:[0,1]
	s_waitcnt vmcnt(1)
	v_and_b32_e32 v2, v22, v24
	s_waitcnt vmcnt(0)
	v_mad_u64_u32 v[2:3], s[20:21], v2, 24, v[28:29]
	v_and_b32_e32 v23, v23, v25
	v_mov_b32_e32 v22, v3
	v_mad_u64_u32 v[22:23], s[20:21], v23, 24, v[22:23]
	v_mov_b32_e32 v3, v22
	global_load_dwordx2 v[22:23], v[2:3], off glc
	s_waitcnt vmcnt(0)
	global_atomic_cmpswap_x2 v[2:3], v27, v[22:25], s[34:35] offset:24 glc
	s_waitcnt vmcnt(0)
	buffer_invl2
	buffer_wbinvl1_vol
	v_cmp_eq_u64_e32 vcc, v[2:3], v[24:25]
	s_or_b64 s[18:19], vcc, s[18:19]
	s_andn2_b64 exec, exec, s[18:19]
	s_cbranch_execnz .LBB2_1260
; %bb.1261:                             ;   in Loop: Header=BB2_1202 Depth=1
	s_or_b64 exec, exec, s[18:19]
.LBB2_1262:                             ;   in Loop: Header=BB2_1202 Depth=1
	s_or_b64 exec, exec, s[16:17]
.LBB2_1263:                             ;   in Loop: Header=BB2_1202 Depth=1
	s_or_b64 exec, exec, s[14:15]
	global_load_dwordx2 v[28:29], v27, s[34:35] offset:40
	global_load_dwordx4 v[22:25], v27, s[34:35]
	v_readfirstlane_b32 s14, v2
	v_readfirstlane_b32 s15, v3
	s_mov_b64 s[16:17], exec
	s_waitcnt vmcnt(1)
	v_readfirstlane_b32 s18, v28
	v_readfirstlane_b32 s19, v29
	s_and_b64 s[18:19], s[14:15], s[18:19]
	s_mul_i32 s20, s19, 24
	s_mul_hi_u32 s21, s18, 24
	s_mul_i32 s22, s18, 24
	s_add_i32 s20, s21, s20
	v_mov_b32_e32 v2, s20
	s_waitcnt vmcnt(0)
	v_add_co_u32_e32 v28, vcc, s22, v22
	v_addc_co_u32_e32 v29, vcc, v23, v2, vcc
	s_and_saveexec_b64 s[20:21], s[4:5]
	s_cbranch_execz .LBB2_1265
; %bb.1264:                             ;   in Loop: Header=BB2_1202 Depth=1
	v_pk_mov_b32 v[2:3], s[16:17], s[16:17] op_sel:[0,1]
	global_store_dwordx4 v[28:29], v[2:5], off offset:8
.LBB2_1265:                             ;   in Loop: Header=BB2_1202 Depth=1
	s_or_b64 exec, exec, s[20:21]
	s_lshl_b64 s[16:17], s[18:19], 12
	v_mov_b32_e32 v3, s17
	v_add_co_u32_e32 v2, vcc, s16, v24
	v_addc_co_u32_e32 v3, vcc, v25, v3, vcc
	v_or_b32_e32 v24, 2, v6
	v_cmp_gt_u64_e64 vcc, s[8:9], 56
	s_lshl_b32 s16, s10, 2
	v_cndmask_b32_e32 v6, v24, v6, vcc
	s_add_i32 s16, s16, 28
	s_and_b32 s16, s16, 0x1e0
	v_and_b32_e32 v6, 0xffffff1f, v6
	v_or_b32_e32 v6, s16, v6
	v_readfirstlane_b32 s16, v2
	v_readfirstlane_b32 s17, v3
	s_nop 4
	global_store_dwordx4 v42, v[6:9], s[16:17]
	global_store_dwordx4 v42, v[10:13], s[16:17] offset:16
	global_store_dwordx4 v42, v[14:17], s[16:17] offset:32
	;; [unrolled: 1-line block ×3, first 2 shown]
	s_and_saveexec_b64 s[16:17], s[4:5]
	s_cbranch_execz .LBB2_1273
; %bb.1266:                             ;   in Loop: Header=BB2_1202 Depth=1
	global_load_dwordx2 v[14:15], v27, s[34:35] offset:32 glc
	global_load_dwordx2 v[6:7], v27, s[34:35] offset:40
	v_mov_b32_e32 v12, s14
	v_mov_b32_e32 v13, s15
	s_waitcnt vmcnt(0)
	v_readfirstlane_b32 s18, v6
	v_readfirstlane_b32 s19, v7
	s_and_b64 s[18:19], s[18:19], s[14:15]
	s_mul_i32 s19, s19, 24
	s_mul_hi_u32 s20, s18, 24
	s_mul_i32 s18, s18, 24
	s_add_i32 s19, s20, s19
	v_mov_b32_e32 v6, s19
	v_add_co_u32_e32 v10, vcc, s18, v22
	v_addc_co_u32_e32 v11, vcc, v23, v6, vcc
	global_store_dwordx2 v[10:11], v[14:15], off
	buffer_wbl2
	s_waitcnt vmcnt(0)
	global_atomic_cmpswap_x2 v[8:9], v27, v[12:15], s[34:35] offset:32 glc
	s_waitcnt vmcnt(0)
	v_cmp_ne_u64_e32 vcc, v[8:9], v[14:15]
	s_and_saveexec_b64 s[18:19], vcc
	s_cbranch_execz .LBB2_1269
; %bb.1267:                             ;   in Loop: Header=BB2_1202 Depth=1
	s_mov_b64 s[20:21], 0
.LBB2_1268:                             ;   Parent Loop BB2_1202 Depth=1
                                        ; =>  This Inner Loop Header: Depth=2
	s_sleep 1
	global_store_dwordx2 v[10:11], v[8:9], off
	v_mov_b32_e32 v6, s14
	v_mov_b32_e32 v7, s15
	buffer_wbl2
	s_waitcnt vmcnt(0)
	global_atomic_cmpswap_x2 v[6:7], v27, v[6:9], s[34:35] offset:32 glc
	s_waitcnt vmcnt(0)
	v_cmp_eq_u64_e32 vcc, v[6:7], v[8:9]
	s_or_b64 s[20:21], vcc, s[20:21]
	v_pk_mov_b32 v[8:9], v[6:7], v[6:7] op_sel:[0,1]
	s_andn2_b64 exec, exec, s[20:21]
	s_cbranch_execnz .LBB2_1268
.LBB2_1269:                             ;   in Loop: Header=BB2_1202 Depth=1
	s_or_b64 exec, exec, s[18:19]
	global_load_dwordx2 v[6:7], v27, s[34:35] offset:16
	s_mov_b64 s[20:21], exec
	v_mbcnt_lo_u32_b32 v8, s20, 0
	v_mbcnt_hi_u32_b32 v8, s21, v8
	v_cmp_eq_u32_e32 vcc, 0, v8
	s_and_saveexec_b64 s[18:19], vcc
	s_cbranch_execz .LBB2_1271
; %bb.1270:                             ;   in Loop: Header=BB2_1202 Depth=1
	s_bcnt1_i32_b64 s20, s[20:21]
	v_mov_b32_e32 v26, s20
	buffer_wbl2
	s_waitcnt vmcnt(0)
	global_atomic_add_x2 v[6:7], v[26:27], off offset:8
.LBB2_1271:                             ;   in Loop: Header=BB2_1202 Depth=1
	s_or_b64 exec, exec, s[18:19]
	s_waitcnt vmcnt(0)
	global_load_dwordx2 v[8:9], v[6:7], off offset:16
	s_waitcnt vmcnt(0)
	v_cmp_eq_u64_e32 vcc, 0, v[8:9]
	s_cbranch_vccnz .LBB2_1273
; %bb.1272:                             ;   in Loop: Header=BB2_1202 Depth=1
	global_load_dword v26, v[6:7], off offset:24
	s_waitcnt vmcnt(0)
	v_and_b32_e32 v6, 0xffffff, v26
	v_readfirstlane_b32 m0, v6
	buffer_wbl2
	global_store_dwordx2 v[8:9], v[26:27], off
	s_sendmsg sendmsg(MSG_INTERRUPT)
.LBB2_1273:                             ;   in Loop: Header=BB2_1202 Depth=1
	s_or_b64 exec, exec, s[16:17]
	v_add_co_u32_e32 v2, vcc, v2, v42
	v_addc_co_u32_e32 v3, vcc, 0, v3, vcc
	s_branch .LBB2_1277
.LBB2_1274:                             ;   in Loop: Header=BB2_1277 Depth=2
	s_or_b64 exec, exec, s[16:17]
	v_readfirstlane_b32 s16, v6
	s_cmp_eq_u32 s16, 0
	s_cbranch_scc1 .LBB2_1276
; %bb.1275:                             ;   in Loop: Header=BB2_1277 Depth=2
	s_sleep 1
	s_cbranch_execnz .LBB2_1277
	s_branch .LBB2_1279
.LBB2_1276:                             ;   in Loop: Header=BB2_1202 Depth=1
	s_branch .LBB2_1279
.LBB2_1277:                             ;   Parent Loop BB2_1202 Depth=1
                                        ; =>  This Inner Loop Header: Depth=2
	v_mov_b32_e32 v6, 1
	s_and_saveexec_b64 s[16:17], s[4:5]
	s_cbranch_execz .LBB2_1274
; %bb.1278:                             ;   in Loop: Header=BB2_1277 Depth=2
	global_load_dword v6, v[28:29], off offset:20 glc
	s_waitcnt vmcnt(0)
	buffer_invl2
	buffer_wbinvl1_vol
	v_and_b32_e32 v6, 1, v6
	s_branch .LBB2_1274
.LBB2_1279:                             ;   in Loop: Header=BB2_1202 Depth=1
	global_load_dwordx4 v[6:9], v[2:3], off
	s_and_saveexec_b64 s[16:17], s[4:5]
	s_cbranch_execz .LBB2_1201
; %bb.1280:                             ;   in Loop: Header=BB2_1202 Depth=1
	global_load_dwordx2 v[2:3], v27, s[34:35] offset:40
	global_load_dwordx2 v[12:13], v27, s[34:35] offset:24 glc
	global_load_dwordx2 v[14:15], v27, s[34:35]
	s_waitcnt vmcnt(3)
	v_mov_b32_e32 v9, s15
	s_waitcnt vmcnt(2)
	v_add_co_u32_e32 v11, vcc, 1, v2
	v_addc_co_u32_e32 v16, vcc, 0, v3, vcc
	v_add_co_u32_e32 v8, vcc, s14, v11
	v_addc_co_u32_e32 v9, vcc, v16, v9, vcc
	v_cmp_eq_u64_e32 vcc, 0, v[8:9]
	v_cndmask_b32_e32 v9, v9, v16, vcc
	v_cndmask_b32_e32 v8, v8, v11, vcc
	v_and_b32_e32 v3, v9, v3
	v_and_b32_e32 v2, v8, v2
	v_mul_lo_u32 v3, v3, 24
	v_mul_hi_u32 v11, v2, 24
	v_mul_lo_u32 v2, v2, 24
	v_add_u32_e32 v3, v11, v3
	s_waitcnt vmcnt(0)
	v_add_co_u32_e32 v2, vcc, v14, v2
	v_addc_co_u32_e32 v3, vcc, v15, v3, vcc
	v_mov_b32_e32 v10, v12
	global_store_dwordx2 v[2:3], v[12:13], off
	v_mov_b32_e32 v11, v13
	buffer_wbl2
	s_waitcnt vmcnt(0)
	global_atomic_cmpswap_x2 v[10:11], v27, v[8:11], s[34:35] offset:24 glc
	s_waitcnt vmcnt(0)
	v_cmp_ne_u64_e32 vcc, v[10:11], v[12:13]
	s_and_b64 exec, exec, vcc
	s_cbranch_execz .LBB2_1201
; %bb.1281:                             ;   in Loop: Header=BB2_1202 Depth=1
	s_mov_b64 s[4:5], 0
.LBB2_1282:                             ;   Parent Loop BB2_1202 Depth=1
                                        ; =>  This Inner Loop Header: Depth=2
	s_sleep 1
	global_store_dwordx2 v[2:3], v[10:11], off
	buffer_wbl2
	s_waitcnt vmcnt(0)
	global_atomic_cmpswap_x2 v[12:13], v27, v[8:11], s[34:35] offset:24 glc
	s_waitcnt vmcnt(0)
	v_cmp_eq_u64_e32 vcc, v[12:13], v[10:11]
	s_or_b64 s[4:5], vcc, s[4:5]
	v_pk_mov_b32 v[10:11], v[12:13], v[12:13] op_sel:[0,1]
	s_andn2_b64 exec, exec, s[4:5]
	s_cbranch_execnz .LBB2_1282
	s_branch .LBB2_1201
.LBB2_1283:
	s_branch .LBB2_1311
.LBB2_1284:
	s_cbranch_execz .LBB2_1311
; %bb.1285:
	v_readfirstlane_b32 s4, v43
	v_cmp_eq_u32_e64 s[4:5], s4, v43
	s_waitcnt vmcnt(0)
	v_pk_mov_b32 v[8:9], 0, 0
	s_and_saveexec_b64 s[6:7], s[4:5]
	s_cbranch_execz .LBB2_1291
; %bb.1286:
	v_mov_b32_e32 v2, 0
	global_load_dwordx2 v[6:7], v2, s[34:35] offset:24 glc
	s_waitcnt vmcnt(0)
	buffer_invl2
	buffer_wbinvl1_vol
	global_load_dwordx2 v[4:5], v2, s[34:35] offset:40
	global_load_dwordx2 v[8:9], v2, s[34:35]
	s_waitcnt vmcnt(1)
	v_and_b32_e32 v3, v4, v6
	v_and_b32_e32 v4, v5, v7
	v_mul_lo_u32 v4, v4, 24
	v_mul_hi_u32 v5, v3, 24
	v_mul_lo_u32 v3, v3, 24
	v_add_u32_e32 v5, v5, v4
	s_waitcnt vmcnt(0)
	v_add_co_u32_e32 v4, vcc, v8, v3
	v_addc_co_u32_e32 v5, vcc, v9, v5, vcc
	global_load_dwordx2 v[4:5], v[4:5], off glc
	s_waitcnt vmcnt(0)
	global_atomic_cmpswap_x2 v[8:9], v2, v[4:7], s[34:35] offset:24 glc
	s_waitcnt vmcnt(0)
	buffer_invl2
	buffer_wbinvl1_vol
	v_cmp_ne_u64_e32 vcc, v[8:9], v[6:7]
	s_and_saveexec_b64 s[8:9], vcc
	s_cbranch_execz .LBB2_1290
; %bb.1287:
	s_mov_b64 s[10:11], 0
.LBB2_1288:                             ; =>This Inner Loop Header: Depth=1
	s_sleep 1
	global_load_dwordx2 v[4:5], v2, s[34:35] offset:40
	global_load_dwordx2 v[10:11], v2, s[34:35]
	v_pk_mov_b32 v[6:7], v[8:9], v[8:9] op_sel:[0,1]
	s_waitcnt vmcnt(1)
	v_and_b32_e32 v4, v4, v6
	v_and_b32_e32 v3, v5, v7
	s_waitcnt vmcnt(0)
	v_mad_u64_u32 v[4:5], s[14:15], v4, 24, v[10:11]
	v_mov_b32_e32 v8, v5
	v_mad_u64_u32 v[8:9], s[14:15], v3, 24, v[8:9]
	v_mov_b32_e32 v5, v8
	global_load_dwordx2 v[4:5], v[4:5], off glc
	s_waitcnt vmcnt(0)
	global_atomic_cmpswap_x2 v[8:9], v2, v[4:7], s[34:35] offset:24 glc
	s_waitcnt vmcnt(0)
	buffer_invl2
	buffer_wbinvl1_vol
	v_cmp_eq_u64_e32 vcc, v[8:9], v[6:7]
	s_or_b64 s[10:11], vcc, s[10:11]
	s_andn2_b64 exec, exec, s[10:11]
	s_cbranch_execnz .LBB2_1288
; %bb.1289:
	s_or_b64 exec, exec, s[10:11]
.LBB2_1290:
	s_or_b64 exec, exec, s[8:9]
.LBB2_1291:
	s_or_b64 exec, exec, s[6:7]
	v_mov_b32_e32 v2, 0
	global_load_dwordx2 v[10:11], v2, s[34:35] offset:40
	global_load_dwordx4 v[4:7], v2, s[34:35]
	v_readfirstlane_b32 s6, v8
	v_readfirstlane_b32 s7, v9
	s_mov_b64 s[8:9], exec
	s_waitcnt vmcnt(1)
	v_readfirstlane_b32 s10, v10
	v_readfirstlane_b32 s11, v11
	s_and_b64 s[10:11], s[6:7], s[10:11]
	s_mul_i32 s14, s11, 24
	s_mul_hi_u32 s15, s10, 24
	s_mul_i32 s16, s10, 24
	s_add_i32 s14, s15, s14
	v_mov_b32_e32 v3, s14
	s_waitcnt vmcnt(0)
	v_add_co_u32_e32 v8, vcc, s16, v4
	v_addc_co_u32_e32 v9, vcc, v5, v3, vcc
	s_and_saveexec_b64 s[14:15], s[4:5]
	s_cbranch_execz .LBB2_1293
; %bb.1292:
	v_pk_mov_b32 v[10:11], s[8:9], s[8:9] op_sel:[0,1]
	v_mov_b32_e32 v12, 2
	v_mov_b32_e32 v13, 1
	global_store_dwordx4 v[8:9], v[10:13], off offset:8
.LBB2_1293:
	s_or_b64 exec, exec, s[14:15]
	s_lshl_b64 s[8:9], s[10:11], 12
	v_mov_b32_e32 v3, s9
	v_add_co_u32_e32 v6, vcc, s8, v6
	s_movk_i32 s8, 0xff1d
	v_addc_co_u32_e32 v7, vcc, v7, v3, vcc
	v_and_or_b32 v0, v0, s8, 34
	s_mov_b32 s8, 0
	v_mov_b32_e32 v3, v2
	v_readfirstlane_b32 s14, v6
	v_readfirstlane_b32 s15, v7
	s_mov_b32 s9, s8
	s_mov_b32 s10, s8
	;; [unrolled: 1-line block ×3, first 2 shown]
	s_nop 1
	global_store_dwordx4 v42, v[0:3], s[14:15]
	s_nop 0
	v_pk_mov_b32 v[0:1], s[8:9], s[8:9] op_sel:[0,1]
	v_pk_mov_b32 v[2:3], s[10:11], s[10:11] op_sel:[0,1]
	global_store_dwordx4 v42, v[0:3], s[14:15] offset:16
	global_store_dwordx4 v42, v[0:3], s[14:15] offset:32
	;; [unrolled: 1-line block ×3, first 2 shown]
	s_and_saveexec_b64 s[8:9], s[4:5]
	s_cbranch_execz .LBB2_1301
; %bb.1294:
	v_mov_b32_e32 v6, 0
	global_load_dwordx2 v[12:13], v6, s[34:35] offset:32 glc
	global_load_dwordx2 v[0:1], v6, s[34:35] offset:40
	v_mov_b32_e32 v10, s6
	v_mov_b32_e32 v11, s7
	s_waitcnt vmcnt(0)
	v_readfirstlane_b32 s10, v0
	v_readfirstlane_b32 s11, v1
	s_and_b64 s[10:11], s[10:11], s[6:7]
	s_mul_i32 s11, s11, 24
	s_mul_hi_u32 s14, s10, 24
	s_mul_i32 s10, s10, 24
	s_add_i32 s11, s14, s11
	v_mov_b32_e32 v0, s11
	v_add_co_u32_e32 v4, vcc, s10, v4
	v_addc_co_u32_e32 v5, vcc, v5, v0, vcc
	global_store_dwordx2 v[4:5], v[12:13], off
	buffer_wbl2
	s_waitcnt vmcnt(0)
	global_atomic_cmpswap_x2 v[2:3], v6, v[10:13], s[34:35] offset:32 glc
	s_waitcnt vmcnt(0)
	v_cmp_ne_u64_e32 vcc, v[2:3], v[12:13]
	s_and_saveexec_b64 s[10:11], vcc
	s_cbranch_execz .LBB2_1297
; %bb.1295:
	s_mov_b64 s[14:15], 0
.LBB2_1296:                             ; =>This Inner Loop Header: Depth=1
	s_sleep 1
	global_store_dwordx2 v[4:5], v[2:3], off
	v_mov_b32_e32 v0, s6
	v_mov_b32_e32 v1, s7
	buffer_wbl2
	s_waitcnt vmcnt(0)
	global_atomic_cmpswap_x2 v[0:1], v6, v[0:3], s[34:35] offset:32 glc
	s_waitcnt vmcnt(0)
	v_cmp_eq_u64_e32 vcc, v[0:1], v[2:3]
	s_or_b64 s[14:15], vcc, s[14:15]
	v_pk_mov_b32 v[2:3], v[0:1], v[0:1] op_sel:[0,1]
	s_andn2_b64 exec, exec, s[14:15]
	s_cbranch_execnz .LBB2_1296
.LBB2_1297:
	s_or_b64 exec, exec, s[10:11]
	v_mov_b32_e32 v3, 0
	global_load_dwordx2 v[0:1], v3, s[34:35] offset:16
	s_mov_b64 s[10:11], exec
	v_mbcnt_lo_u32_b32 v2, s10, 0
	v_mbcnt_hi_u32_b32 v2, s11, v2
	v_cmp_eq_u32_e32 vcc, 0, v2
	s_and_saveexec_b64 s[14:15], vcc
	s_cbranch_execz .LBB2_1299
; %bb.1298:
	s_bcnt1_i32_b64 s10, s[10:11]
	v_mov_b32_e32 v2, s10
	buffer_wbl2
	s_waitcnt vmcnt(0)
	global_atomic_add_x2 v[0:1], v[2:3], off offset:8
.LBB2_1299:
	s_or_b64 exec, exec, s[14:15]
	s_waitcnt vmcnt(0)
	global_load_dwordx2 v[2:3], v[0:1], off offset:16
	s_waitcnt vmcnt(0)
	v_cmp_eq_u64_e32 vcc, 0, v[2:3]
	s_cbranch_vccnz .LBB2_1301
; %bb.1300:
	global_load_dword v0, v[0:1], off offset:24
	v_mov_b32_e32 v1, 0
	buffer_wbl2
	s_waitcnt vmcnt(0)
	global_store_dwordx2 v[2:3], v[0:1], off
	v_and_b32_e32 v0, 0xffffff, v0
	v_readfirstlane_b32 m0, v0
	s_sendmsg sendmsg(MSG_INTERRUPT)
.LBB2_1301:
	s_or_b64 exec, exec, s[8:9]
	s_branch .LBB2_1305
.LBB2_1302:                             ;   in Loop: Header=BB2_1305 Depth=1
	s_or_b64 exec, exec, s[8:9]
	v_readfirstlane_b32 s8, v0
	s_cmp_eq_u32 s8, 0
	s_cbranch_scc1 .LBB2_1304
; %bb.1303:                             ;   in Loop: Header=BB2_1305 Depth=1
	s_sleep 1
	s_cbranch_execnz .LBB2_1305
	s_branch .LBB2_1307
.LBB2_1304:
	s_branch .LBB2_1307
.LBB2_1305:                             ; =>This Inner Loop Header: Depth=1
	v_mov_b32_e32 v0, 1
	s_and_saveexec_b64 s[8:9], s[4:5]
	s_cbranch_execz .LBB2_1302
; %bb.1306:                             ;   in Loop: Header=BB2_1305 Depth=1
	global_load_dword v0, v[8:9], off offset:20 glc
	s_waitcnt vmcnt(0)
	buffer_invl2
	buffer_wbinvl1_vol
	v_and_b32_e32 v0, 1, v0
	s_branch .LBB2_1302
.LBB2_1307:
	s_and_saveexec_b64 s[8:9], s[4:5]
	s_cbranch_execz .LBB2_1310
; %bb.1308:
	v_mov_b32_e32 v6, 0
	global_load_dwordx2 v[4:5], v6, s[34:35] offset:40
	global_load_dwordx2 v[8:9], v6, s[34:35] offset:24 glc
	global_load_dwordx2 v[10:11], v6, s[34:35]
	v_mov_b32_e32 v1, s7
	s_mov_b64 s[4:5], 0
	s_waitcnt vmcnt(2)
	v_add_co_u32_e32 v3, vcc, 1, v4
	v_addc_co_u32_e32 v7, vcc, 0, v5, vcc
	v_add_co_u32_e32 v0, vcc, s6, v3
	v_addc_co_u32_e32 v1, vcc, v7, v1, vcc
	v_cmp_eq_u64_e32 vcc, 0, v[0:1]
	v_cndmask_b32_e32 v1, v1, v7, vcc
	v_cndmask_b32_e32 v0, v0, v3, vcc
	v_and_b32_e32 v3, v1, v5
	v_and_b32_e32 v4, v0, v4
	v_mul_lo_u32 v3, v3, 24
	v_mul_hi_u32 v5, v4, 24
	v_mul_lo_u32 v4, v4, 24
	v_add_u32_e32 v3, v5, v3
	s_waitcnt vmcnt(0)
	v_add_co_u32_e32 v4, vcc, v10, v4
	v_addc_co_u32_e32 v5, vcc, v11, v3, vcc
	v_mov_b32_e32 v2, v8
	global_store_dwordx2 v[4:5], v[8:9], off
	v_mov_b32_e32 v3, v9
	buffer_wbl2
	s_waitcnt vmcnt(0)
	global_atomic_cmpswap_x2 v[2:3], v6, v[0:3], s[34:35] offset:24 glc
	s_waitcnt vmcnt(0)
	v_cmp_ne_u64_e32 vcc, v[2:3], v[8:9]
	s_and_b64 exec, exec, vcc
	s_cbranch_execz .LBB2_1310
.LBB2_1309:                             ; =>This Inner Loop Header: Depth=1
	s_sleep 1
	global_store_dwordx2 v[4:5], v[2:3], off
	buffer_wbl2
	s_waitcnt vmcnt(0)
	global_atomic_cmpswap_x2 v[8:9], v6, v[0:3], s[34:35] offset:24 glc
	s_waitcnt vmcnt(0)
	v_cmp_eq_u64_e32 vcc, v[8:9], v[2:3]
	s_or_b64 s[4:5], vcc, s[4:5]
	v_pk_mov_b32 v[2:3], v[8:9], v[8:9] op_sel:[0,1]
	s_andn2_b64 exec, exec, s[4:5]
	s_cbranch_execnz .LBB2_1309
.LBB2_1310:
	s_or_b64 exec, exec, s[8:9]
.LBB2_1311:
	s_cmp_lt_i32 s30, 1
	s_cbranch_scc1 .LBB2_1596
; %bb.1312:
	s_mov_b32 s7, 0
	s_getpc_b64 s[4:5]
	s_add_u32 s4, s4, .str.5@rel32@lo+4
	s_addc_u32 s5, s5, .str.5@rel32@hi+12
	s_mov_b32 s10, s7
	s_mov_b32 s11, s7
	s_cmp_lg_u64 s[4:5], 0
	v_mov_b32_e32 v3, 0
	s_mov_b32 s8, s7
	s_mov_b32 s9, s7
	v_pk_mov_b32 v[14:15], s[10:11], s[10:11] op_sel:[0,1]
	s_cselect_b64 s[14:15], -1, 0
	v_mov_b32_e32 v4, 33
	s_movk_i32 s29, 0xff1f
	s_movk_i32 s31, 0xff1d
	v_mov_b32_e32 v10, 2
	v_mov_b32_e32 v11, 1
	v_mov_b32_e32 v5, v3
	s_waitcnt vmcnt(0)
	v_mov_b32_e32 v6, v3
	v_mov_b32_e32 v7, v3
	v_pk_mov_b32 v[12:13], s[8:9], s[8:9] op_sel:[0,1]
	s_mov_b32 s6, s7
	s_branch .LBB2_1314
.LBB2_1313:                             ;   in Loop: Header=BB2_1314 Depth=1
	s_or_b64 exec, exec, s[18:19]
	s_add_i32 s6, s6, 1
	s_cmp_eq_u32 s6, s30
	s_cbranch_scc1 .LBB2_1596
.LBB2_1314:                             ; =>This Loop Header: Depth=1
                                        ;     Child Loop BB2_1317 Depth 2
                                        ;     Child Loop BB2_1325 Depth 2
	;; [unrolled: 1-line block ×9, first 2 shown]
                                        ;       Child Loop BB2_1346 Depth 3
                                        ;       Child Loop BB2_1353 Depth 3
	;; [unrolled: 1-line block ×11, first 2 shown]
                                        ;     Child Loop BB2_1455 Depth 2
                                        ;     Child Loop BB2_1546 Depth 2
                                        ;     Child Loop BB2_1554 Depth 2
                                        ;     Child Loop BB2_1563 Depth 2
                                        ;     Child Loop BB2_1568 Depth 2
                                        ;     Child Loop BB2_1460 Depth 2
                                        ;       Child Loop BB2_1463 Depth 3
                                        ;       Child Loop BB2_1470 Depth 3
	;; [unrolled: 1-line block ×11, first 2 shown]
                                        ;     Child Loop BB2_1573 Depth 2
                                        ;     Child Loop BB2_1581 Depth 2
                                        ;     Child Loop BB2_1590 Depth 2
                                        ;     Child Loop BB2_1595 Depth 2
	s_lshl_b64 s[4:5], s[6:7], 2
	s_add_u32 s4, s12, s4
	s_addc_u32 s5, s13, s5
	global_load_dword v0, v3, s[4:5]
	v_readfirstlane_b32 s4, v43
	v_cmp_eq_u32_e64 s[4:5], s4, v43
	s_waitcnt vmcnt(0)
	v_readfirstlane_b32 s33, v0
	v_pk_mov_b32 v[0:1], 0, 0
	s_and_saveexec_b64 s[16:17], s[4:5]
	s_cbranch_execz .LBB2_1320
; %bb.1315:                             ;   in Loop: Header=BB2_1314 Depth=1
	global_load_dwordx2 v[18:19], v3, s[34:35] offset:24 glc
	s_waitcnt vmcnt(0)
	buffer_invl2
	buffer_wbinvl1_vol
	global_load_dwordx2 v[0:1], v3, s[34:35] offset:40
	global_load_dwordx2 v[8:9], v3, s[34:35]
	s_waitcnt vmcnt(1)
	v_and_b32_e32 v0, v0, v18
	v_and_b32_e32 v1, v1, v19
	v_mul_lo_u32 v1, v1, 24
	v_mul_hi_u32 v2, v0, 24
	v_mul_lo_u32 v0, v0, 24
	v_add_u32_e32 v1, v2, v1
	s_waitcnt vmcnt(0)
	v_add_co_u32_e32 v0, vcc, v8, v0
	v_addc_co_u32_e32 v1, vcc, v9, v1, vcc
	global_load_dwordx2 v[16:17], v[0:1], off glc
	s_waitcnt vmcnt(0)
	global_atomic_cmpswap_x2 v[0:1], v3, v[16:19], s[34:35] offset:24 glc
	s_waitcnt vmcnt(0)
	buffer_invl2
	buffer_wbinvl1_vol
	v_cmp_ne_u64_e32 vcc, v[0:1], v[18:19]
	s_and_saveexec_b64 s[18:19], vcc
	s_cbranch_execz .LBB2_1319
; %bb.1316:                             ;   in Loop: Header=BB2_1314 Depth=1
	s_mov_b64 s[20:21], 0
.LBB2_1317:                             ;   Parent Loop BB2_1314 Depth=1
                                        ; =>  This Inner Loop Header: Depth=2
	s_sleep 1
	global_load_dwordx2 v[8:9], v3, s[34:35] offset:40
	global_load_dwordx2 v[16:17], v3, s[34:35]
	v_pk_mov_b32 v[18:19], v[0:1], v[0:1] op_sel:[0,1]
	s_waitcnt vmcnt(1)
	v_and_b32_e32 v0, v8, v18
	s_waitcnt vmcnt(0)
	v_mad_u64_u32 v[0:1], s[22:23], v0, 24, v[16:17]
	v_and_b32_e32 v9, v9, v19
	v_mov_b32_e32 v2, v1
	v_mad_u64_u32 v[8:9], s[22:23], v9, 24, v[2:3]
	v_mov_b32_e32 v1, v8
	global_load_dwordx2 v[16:17], v[0:1], off glc
	s_waitcnt vmcnt(0)
	global_atomic_cmpswap_x2 v[0:1], v3, v[16:19], s[34:35] offset:24 glc
	s_waitcnt vmcnt(0)
	buffer_invl2
	buffer_wbinvl1_vol
	v_cmp_eq_u64_e32 vcc, v[0:1], v[18:19]
	s_or_b64 s[20:21], vcc, s[20:21]
	s_andn2_b64 exec, exec, s[20:21]
	s_cbranch_execnz .LBB2_1317
; %bb.1318:                             ;   in Loop: Header=BB2_1314 Depth=1
	s_or_b64 exec, exec, s[20:21]
.LBB2_1319:                             ;   in Loop: Header=BB2_1314 Depth=1
	s_or_b64 exec, exec, s[18:19]
.LBB2_1320:                             ;   in Loop: Header=BB2_1314 Depth=1
	s_or_b64 exec, exec, s[16:17]
	global_load_dwordx2 v[8:9], v3, s[34:35] offset:40
	global_load_dwordx4 v[16:19], v3, s[34:35]
	v_readfirstlane_b32 s16, v0
	v_readfirstlane_b32 s17, v1
	s_mov_b64 s[18:19], exec
	s_waitcnt vmcnt(1)
	v_readfirstlane_b32 s20, v8
	v_readfirstlane_b32 s21, v9
	s_and_b64 s[20:21], s[16:17], s[20:21]
	s_mul_i32 s22, s21, 24
	s_mul_hi_u32 s23, s20, 24
	s_mul_i32 s24, s20, 24
	s_add_i32 s22, s23, s22
	v_mov_b32_e32 v1, s22
	s_waitcnt vmcnt(0)
	v_add_co_u32_e32 v0, vcc, s24, v16
	v_addc_co_u32_e32 v1, vcc, v17, v1, vcc
	s_and_saveexec_b64 s[22:23], s[4:5]
	s_cbranch_execz .LBB2_1322
; %bb.1321:                             ;   in Loop: Header=BB2_1314 Depth=1
	v_pk_mov_b32 v[8:9], s[18:19], s[18:19] op_sel:[0,1]
	global_store_dwordx4 v[0:1], v[8:11], off offset:8
.LBB2_1322:                             ;   in Loop: Header=BB2_1314 Depth=1
	s_or_b64 exec, exec, s[22:23]
	s_lshl_b64 s[18:19], s[20:21], 12
	v_mov_b32_e32 v2, s19
	v_add_co_u32_e32 v8, vcc, s18, v18
	v_addc_co_u32_e32 v9, vcc, v19, v2, vcc
	v_readfirstlane_b32 s18, v8
	v_readfirstlane_b32 s19, v9
	s_nop 4
	global_store_dwordx4 v42, v[4:7], s[18:19]
	global_store_dwordx4 v42, v[12:15], s[18:19] offset:16
	global_store_dwordx4 v42, v[12:15], s[18:19] offset:32
	;; [unrolled: 1-line block ×3, first 2 shown]
	s_and_saveexec_b64 s[18:19], s[4:5]
	s_cbranch_execz .LBB2_1330
; %bb.1323:                             ;   in Loop: Header=BB2_1314 Depth=1
	global_load_dwordx2 v[24:25], v3, s[34:35] offset:32 glc
	global_load_dwordx2 v[18:19], v3, s[34:35] offset:40
	v_mov_b32_e32 v22, s16
	v_mov_b32_e32 v23, s17
	s_waitcnt vmcnt(0)
	v_readfirstlane_b32 s20, v18
	v_readfirstlane_b32 s21, v19
	s_and_b64 s[20:21], s[20:21], s[16:17]
	s_mul_i32 s21, s21, 24
	s_mul_hi_u32 s22, s20, 24
	s_mul_i32 s20, s20, 24
	s_add_i32 s21, s22, s21
	v_mov_b32_e32 v2, s21
	v_add_co_u32_e32 v20, vcc, s20, v16
	v_addc_co_u32_e32 v21, vcc, v17, v2, vcc
	global_store_dwordx2 v[20:21], v[24:25], off
	buffer_wbl2
	s_waitcnt vmcnt(0)
	global_atomic_cmpswap_x2 v[18:19], v3, v[22:25], s[34:35] offset:32 glc
	s_waitcnt vmcnt(0)
	v_cmp_ne_u64_e32 vcc, v[18:19], v[24:25]
	s_and_saveexec_b64 s[20:21], vcc
	s_cbranch_execz .LBB2_1326
; %bb.1324:                             ;   in Loop: Header=BB2_1314 Depth=1
	s_mov_b64 s[22:23], 0
.LBB2_1325:                             ;   Parent Loop BB2_1314 Depth=1
                                        ; =>  This Inner Loop Header: Depth=2
	s_sleep 1
	global_store_dwordx2 v[20:21], v[18:19], off
	v_mov_b32_e32 v16, s16
	v_mov_b32_e32 v17, s17
	buffer_wbl2
	s_waitcnt vmcnt(0)
	global_atomic_cmpswap_x2 v[16:17], v3, v[16:19], s[34:35] offset:32 glc
	s_waitcnt vmcnt(0)
	v_cmp_eq_u64_e32 vcc, v[16:17], v[18:19]
	s_or_b64 s[22:23], vcc, s[22:23]
	v_pk_mov_b32 v[18:19], v[16:17], v[16:17] op_sel:[0,1]
	s_andn2_b64 exec, exec, s[22:23]
	s_cbranch_execnz .LBB2_1325
.LBB2_1326:                             ;   in Loop: Header=BB2_1314 Depth=1
	s_or_b64 exec, exec, s[20:21]
	global_load_dwordx2 v[16:17], v3, s[34:35] offset:16
	s_mov_b64 s[22:23], exec
	v_mbcnt_lo_u32_b32 v2, s22, 0
	v_mbcnt_hi_u32_b32 v2, s23, v2
	v_cmp_eq_u32_e32 vcc, 0, v2
	s_and_saveexec_b64 s[20:21], vcc
	s_cbranch_execz .LBB2_1328
; %bb.1327:                             ;   in Loop: Header=BB2_1314 Depth=1
	s_bcnt1_i32_b64 s22, s[22:23]
	v_mov_b32_e32 v2, s22
	buffer_wbl2
	s_waitcnt vmcnt(0)
	global_atomic_add_x2 v[16:17], v[2:3], off offset:8
.LBB2_1328:                             ;   in Loop: Header=BB2_1314 Depth=1
	s_or_b64 exec, exec, s[20:21]
	s_waitcnt vmcnt(0)
	global_load_dwordx2 v[18:19], v[16:17], off offset:16
	s_waitcnt vmcnt(0)
	v_cmp_eq_u64_e32 vcc, 0, v[18:19]
	s_cbranch_vccnz .LBB2_1330
; %bb.1329:                             ;   in Loop: Header=BB2_1314 Depth=1
	global_load_dword v2, v[16:17], off offset:24
	buffer_wbl2
	s_waitcnt vmcnt(0)
	global_store_dwordx2 v[18:19], v[2:3], off
	v_and_b32_e32 v2, 0xffffff, v2
	v_readfirstlane_b32 m0, v2
	s_sendmsg sendmsg(MSG_INTERRUPT)
.LBB2_1330:                             ;   in Loop: Header=BB2_1314 Depth=1
	s_or_b64 exec, exec, s[18:19]
	v_add_co_u32_e32 v8, vcc, v8, v42
	v_addc_co_u32_e32 v9, vcc, 0, v9, vcc
	s_branch .LBB2_1334
.LBB2_1331:                             ;   in Loop: Header=BB2_1334 Depth=2
	s_or_b64 exec, exec, s[18:19]
	v_readfirstlane_b32 s18, v2
	s_cmp_eq_u32 s18, 0
	s_cbranch_scc1 .LBB2_1333
; %bb.1332:                             ;   in Loop: Header=BB2_1334 Depth=2
	s_sleep 1
	s_cbranch_execnz .LBB2_1334
	s_branch .LBB2_1336
.LBB2_1333:                             ;   in Loop: Header=BB2_1314 Depth=1
	s_branch .LBB2_1336
.LBB2_1334:                             ;   Parent Loop BB2_1314 Depth=1
                                        ; =>  This Inner Loop Header: Depth=2
	v_mov_b32_e32 v2, 1
	s_and_saveexec_b64 s[18:19], s[4:5]
	s_cbranch_execz .LBB2_1331
; %bb.1335:                             ;   in Loop: Header=BB2_1334 Depth=2
	global_load_dword v2, v[0:1], off offset:20 glc
	s_waitcnt vmcnt(0)
	buffer_invl2
	buffer_wbinvl1_vol
	v_and_b32_e32 v2, 1, v2
	s_branch .LBB2_1331
.LBB2_1336:                             ;   in Loop: Header=BB2_1314 Depth=1
	global_load_dwordx2 v[0:1], v[8:9], off
	s_and_saveexec_b64 s[18:19], s[4:5]
	s_cbranch_execz .LBB2_1340
; %bb.1337:                             ;   in Loop: Header=BB2_1314 Depth=1
	global_load_dwordx2 v[8:9], v3, s[34:35] offset:40
	global_load_dwordx2 v[20:21], v3, s[34:35] offset:24 glc
	global_load_dwordx2 v[22:23], v3, s[34:35]
	v_mov_b32_e32 v2, s17
	s_waitcnt vmcnt(2)
	v_add_co_u32_e32 v19, vcc, 1, v8
	v_addc_co_u32_e32 v24, vcc, 0, v9, vcc
	v_add_co_u32_e32 v16, vcc, s16, v19
	v_addc_co_u32_e32 v17, vcc, v24, v2, vcc
	v_cmp_eq_u64_e32 vcc, 0, v[16:17]
	v_cndmask_b32_e32 v17, v17, v24, vcc
	v_cndmask_b32_e32 v16, v16, v19, vcc
	v_and_b32_e32 v2, v17, v9
	v_and_b32_e32 v8, v16, v8
	v_mul_lo_u32 v2, v2, 24
	v_mul_hi_u32 v9, v8, 24
	v_mul_lo_u32 v8, v8, 24
	v_add_u32_e32 v2, v9, v2
	s_waitcnt vmcnt(0)
	v_add_co_u32_e32 v8, vcc, v22, v8
	v_addc_co_u32_e32 v9, vcc, v23, v2, vcc
	v_mov_b32_e32 v18, v20
	global_store_dwordx2 v[8:9], v[20:21], off
	v_mov_b32_e32 v19, v21
	buffer_wbl2
	s_waitcnt vmcnt(0)
	global_atomic_cmpswap_x2 v[18:19], v3, v[16:19], s[34:35] offset:24 glc
	s_waitcnt vmcnt(0)
	v_cmp_ne_u64_e32 vcc, v[18:19], v[20:21]
	s_and_b64 exec, exec, vcc
	s_cbranch_execz .LBB2_1340
; %bb.1338:                             ;   in Loop: Header=BB2_1314 Depth=1
	s_mov_b64 s[4:5], 0
.LBB2_1339:                             ;   Parent Loop BB2_1314 Depth=1
                                        ; =>  This Inner Loop Header: Depth=2
	s_sleep 1
	global_store_dwordx2 v[8:9], v[18:19], off
	buffer_wbl2
	s_waitcnt vmcnt(0)
	global_atomic_cmpswap_x2 v[20:21], v3, v[16:19], s[34:35] offset:24 glc
	s_waitcnt vmcnt(0)
	v_cmp_eq_u64_e32 vcc, v[20:21], v[18:19]
	s_or_b64 s[4:5], vcc, s[4:5]
	v_pk_mov_b32 v[18:19], v[20:21], v[20:21] op_sel:[0,1]
	s_andn2_b64 exec, exec, s[4:5]
	s_cbranch_execnz .LBB2_1339
.LBB2_1340:                             ;   in Loop: Header=BB2_1314 Depth=1
	s_or_b64 exec, exec, s[18:19]
	s_and_b64 vcc, exec, s[14:15]
	s_cbranch_vccz .LBB2_1425
; %bb.1341:                             ;   in Loop: Header=BB2_1314 Depth=1
	s_waitcnt vmcnt(0)
	v_and_b32_e32 v36, 2, v0
	v_and_b32_e32 v16, -3, v0
	v_mov_b32_e32 v17, v1
	s_mov_b64 s[18:19], 6
	s_getpc_b64 s[16:17]
	s_add_u32 s16, s16, .str.5@rel32@lo+4
	s_addc_u32 s17, s17, .str.5@rel32@hi+12
	s_branch .LBB2_1343
.LBB2_1342:                             ;   in Loop: Header=BB2_1343 Depth=2
	s_or_b64 exec, exec, s[24:25]
	s_sub_u32 s18, s18, s20
	s_subb_u32 s19, s19, s21
	s_add_u32 s16, s16, s20
	s_addc_u32 s17, s17, s21
	s_cmp_lg_u64 s[18:19], 0
	s_cbranch_scc0 .LBB2_1424
.LBB2_1343:                             ;   Parent Loop BB2_1314 Depth=1
                                        ; =>  This Loop Header: Depth=2
                                        ;       Child Loop BB2_1346 Depth 3
                                        ;       Child Loop BB2_1353 Depth 3
	;; [unrolled: 1-line block ×11, first 2 shown]
	v_cmp_lt_u64_e64 s[4:5], s[18:19], 56
	s_and_b64 s[4:5], s[4:5], exec
	v_cmp_gt_u64_e64 s[4:5], s[18:19], 7
	s_cselect_b32 s21, s19, 0
	s_cselect_b32 s20, s18, 56
	s_and_b64 vcc, exec, s[4:5]
	s_cbranch_vccnz .LBB2_1348
; %bb.1344:                             ;   in Loop: Header=BB2_1343 Depth=2
	s_mov_b64 s[4:5], 0
	s_cmp_eq_u64 s[18:19], 0
	s_waitcnt vmcnt(0)
	v_pk_mov_b32 v[18:19], 0, 0
	s_cbranch_scc1 .LBB2_1347
; %bb.1345:                             ;   in Loop: Header=BB2_1343 Depth=2
	s_lshl_b64 s[22:23], s[20:21], 3
	s_mov_b64 s[24:25], 0
	v_pk_mov_b32 v[18:19], 0, 0
	s_mov_b64 s[36:37], s[16:17]
.LBB2_1346:                             ;   Parent Loop BB2_1314 Depth=1
                                        ;     Parent Loop BB2_1343 Depth=2
                                        ; =>    This Inner Loop Header: Depth=3
	global_load_ubyte v2, v3, s[36:37]
	s_waitcnt vmcnt(0)
	v_and_b32_e32 v2, 0xffff, v2
	v_lshlrev_b64 v[8:9], s24, v[2:3]
	s_add_u32 s24, s24, 8
	s_addc_u32 s25, s25, 0
	s_add_u32 s36, s36, 1
	s_addc_u32 s37, s37, 0
	v_or_b32_e32 v18, v8, v18
	s_cmp_lg_u32 s22, s24
	v_or_b32_e32 v19, v9, v19
	s_cbranch_scc1 .LBB2_1346
.LBB2_1347:                             ;   in Loop: Header=BB2_1343 Depth=2
	s_mov_b32 s36, 0
	s_andn2_b64 vcc, exec, s[4:5]
	s_mov_b64 s[4:5], s[16:17]
	s_cbranch_vccz .LBB2_1349
	s_branch .LBB2_1350
.LBB2_1348:                             ;   in Loop: Header=BB2_1343 Depth=2
                                        ; implicit-def: $vgpr18_vgpr19
                                        ; implicit-def: $sgpr36
	s_mov_b64 s[4:5], s[16:17]
.LBB2_1349:                             ;   in Loop: Header=BB2_1343 Depth=2
	global_load_dwordx2 v[18:19], v3, s[16:17]
	s_add_i32 s36, s20, -8
	s_add_u32 s4, s16, 8
	s_addc_u32 s5, s17, 0
.LBB2_1350:                             ;   in Loop: Header=BB2_1343 Depth=2
	s_cmp_gt_u32 s36, 7
	s_cbranch_scc1 .LBB2_1354
; %bb.1351:                             ;   in Loop: Header=BB2_1343 Depth=2
	s_cmp_eq_u32 s36, 0
	s_cbranch_scc1 .LBB2_1355
; %bb.1352:                             ;   in Loop: Header=BB2_1343 Depth=2
	s_mov_b64 s[22:23], 0
	v_pk_mov_b32 v[20:21], 0, 0
	s_mov_b64 s[24:25], 0
.LBB2_1353:                             ;   Parent Loop BB2_1314 Depth=1
                                        ;     Parent Loop BB2_1343 Depth=2
                                        ; =>    This Inner Loop Header: Depth=3
	s_add_u32 s38, s4, s24
	s_addc_u32 s39, s5, s25
	global_load_ubyte v2, v3, s[38:39]
	s_add_u32 s24, s24, 1
	s_addc_u32 s25, s25, 0
	s_waitcnt vmcnt(0)
	v_and_b32_e32 v2, 0xffff, v2
	v_lshlrev_b64 v[8:9], s22, v[2:3]
	s_add_u32 s22, s22, 8
	s_addc_u32 s23, s23, 0
	v_or_b32_e32 v20, v8, v20
	s_cmp_lg_u32 s36, s24
	v_or_b32_e32 v21, v9, v21
	s_cbranch_scc1 .LBB2_1353
	s_branch .LBB2_1356
.LBB2_1354:                             ;   in Loop: Header=BB2_1343 Depth=2
                                        ; implicit-def: $vgpr20_vgpr21
                                        ; implicit-def: $sgpr37
	s_branch .LBB2_1357
.LBB2_1355:                             ;   in Loop: Header=BB2_1343 Depth=2
	v_pk_mov_b32 v[20:21], 0, 0
.LBB2_1356:                             ;   in Loop: Header=BB2_1343 Depth=2
	s_mov_b32 s37, 0
	s_cbranch_execnz .LBB2_1358
.LBB2_1357:                             ;   in Loop: Header=BB2_1343 Depth=2
	global_load_dwordx2 v[20:21], v3, s[4:5]
	s_add_i32 s37, s36, -8
	s_add_u32 s4, s4, 8
	s_addc_u32 s5, s5, 0
.LBB2_1358:                             ;   in Loop: Header=BB2_1343 Depth=2
	s_cmp_gt_u32 s37, 7
	s_cbranch_scc1 .LBB2_1362
; %bb.1359:                             ;   in Loop: Header=BB2_1343 Depth=2
	s_cmp_eq_u32 s37, 0
	s_cbranch_scc1 .LBB2_1363
; %bb.1360:                             ;   in Loop: Header=BB2_1343 Depth=2
	s_mov_b64 s[22:23], 0
	v_pk_mov_b32 v[22:23], 0, 0
	s_mov_b64 s[24:25], 0
.LBB2_1361:                             ;   Parent Loop BB2_1314 Depth=1
                                        ;     Parent Loop BB2_1343 Depth=2
                                        ; =>    This Inner Loop Header: Depth=3
	s_add_u32 s38, s4, s24
	s_addc_u32 s39, s5, s25
	global_load_ubyte v2, v3, s[38:39]
	s_add_u32 s24, s24, 1
	s_addc_u32 s25, s25, 0
	s_waitcnt vmcnt(0)
	v_and_b32_e32 v2, 0xffff, v2
	v_lshlrev_b64 v[8:9], s22, v[2:3]
	s_add_u32 s22, s22, 8
	s_addc_u32 s23, s23, 0
	v_or_b32_e32 v22, v8, v22
	s_cmp_lg_u32 s37, s24
	v_or_b32_e32 v23, v9, v23
	s_cbranch_scc1 .LBB2_1361
	s_branch .LBB2_1364
.LBB2_1362:                             ;   in Loop: Header=BB2_1343 Depth=2
                                        ; implicit-def: $sgpr36
	s_branch .LBB2_1365
.LBB2_1363:                             ;   in Loop: Header=BB2_1343 Depth=2
	v_pk_mov_b32 v[22:23], 0, 0
.LBB2_1364:                             ;   in Loop: Header=BB2_1343 Depth=2
	s_mov_b32 s36, 0
	s_cbranch_execnz .LBB2_1366
.LBB2_1365:                             ;   in Loop: Header=BB2_1343 Depth=2
	global_load_dwordx2 v[22:23], v3, s[4:5]
	s_add_i32 s36, s37, -8
	s_add_u32 s4, s4, 8
	s_addc_u32 s5, s5, 0
.LBB2_1366:                             ;   in Loop: Header=BB2_1343 Depth=2
	s_cmp_gt_u32 s36, 7
	s_cbranch_scc1 .LBB2_1370
; %bb.1367:                             ;   in Loop: Header=BB2_1343 Depth=2
	s_cmp_eq_u32 s36, 0
	s_cbranch_scc1 .LBB2_1371
; %bb.1368:                             ;   in Loop: Header=BB2_1343 Depth=2
	s_mov_b64 s[22:23], 0
	v_pk_mov_b32 v[24:25], 0, 0
	s_mov_b64 s[24:25], 0
.LBB2_1369:                             ;   Parent Loop BB2_1314 Depth=1
                                        ;     Parent Loop BB2_1343 Depth=2
                                        ; =>    This Inner Loop Header: Depth=3
	s_add_u32 s38, s4, s24
	s_addc_u32 s39, s5, s25
	global_load_ubyte v2, v3, s[38:39]
	s_add_u32 s24, s24, 1
	s_addc_u32 s25, s25, 0
	s_waitcnt vmcnt(0)
	v_and_b32_e32 v2, 0xffff, v2
	v_lshlrev_b64 v[8:9], s22, v[2:3]
	s_add_u32 s22, s22, 8
	s_addc_u32 s23, s23, 0
	v_or_b32_e32 v24, v8, v24
	s_cmp_lg_u32 s36, s24
	v_or_b32_e32 v25, v9, v25
	s_cbranch_scc1 .LBB2_1369
	s_branch .LBB2_1372
.LBB2_1370:                             ;   in Loop: Header=BB2_1343 Depth=2
                                        ; implicit-def: $vgpr24_vgpr25
                                        ; implicit-def: $sgpr37
	s_branch .LBB2_1373
.LBB2_1371:                             ;   in Loop: Header=BB2_1343 Depth=2
	v_pk_mov_b32 v[24:25], 0, 0
.LBB2_1372:                             ;   in Loop: Header=BB2_1343 Depth=2
	s_mov_b32 s37, 0
	s_cbranch_execnz .LBB2_1374
.LBB2_1373:                             ;   in Loop: Header=BB2_1343 Depth=2
	global_load_dwordx2 v[24:25], v3, s[4:5]
	s_add_i32 s37, s36, -8
	s_add_u32 s4, s4, 8
	s_addc_u32 s5, s5, 0
.LBB2_1374:                             ;   in Loop: Header=BB2_1343 Depth=2
	s_cmp_gt_u32 s37, 7
	s_cbranch_scc1 .LBB2_1378
; %bb.1375:                             ;   in Loop: Header=BB2_1343 Depth=2
	s_cmp_eq_u32 s37, 0
	s_cbranch_scc1 .LBB2_1379
; %bb.1376:                             ;   in Loop: Header=BB2_1343 Depth=2
	s_mov_b64 s[22:23], 0
	v_pk_mov_b32 v[26:27], 0, 0
	s_mov_b64 s[24:25], 0
.LBB2_1377:                             ;   Parent Loop BB2_1314 Depth=1
                                        ;     Parent Loop BB2_1343 Depth=2
                                        ; =>    This Inner Loop Header: Depth=3
	s_add_u32 s38, s4, s24
	s_addc_u32 s39, s5, s25
	global_load_ubyte v2, v3, s[38:39]
	s_add_u32 s24, s24, 1
	s_addc_u32 s25, s25, 0
	s_waitcnt vmcnt(0)
	v_and_b32_e32 v2, 0xffff, v2
	v_lshlrev_b64 v[8:9], s22, v[2:3]
	s_add_u32 s22, s22, 8
	s_addc_u32 s23, s23, 0
	v_or_b32_e32 v26, v8, v26
	s_cmp_lg_u32 s37, s24
	v_or_b32_e32 v27, v9, v27
	s_cbranch_scc1 .LBB2_1377
	s_branch .LBB2_1380
.LBB2_1378:                             ;   in Loop: Header=BB2_1343 Depth=2
                                        ; implicit-def: $sgpr36
	s_branch .LBB2_1381
.LBB2_1379:                             ;   in Loop: Header=BB2_1343 Depth=2
	v_pk_mov_b32 v[26:27], 0, 0
.LBB2_1380:                             ;   in Loop: Header=BB2_1343 Depth=2
	s_mov_b32 s36, 0
	s_cbranch_execnz .LBB2_1382
.LBB2_1381:                             ;   in Loop: Header=BB2_1343 Depth=2
	global_load_dwordx2 v[26:27], v3, s[4:5]
	s_add_i32 s36, s37, -8
	s_add_u32 s4, s4, 8
	s_addc_u32 s5, s5, 0
.LBB2_1382:                             ;   in Loop: Header=BB2_1343 Depth=2
	s_cmp_gt_u32 s36, 7
	s_cbranch_scc1 .LBB2_1386
; %bb.1383:                             ;   in Loop: Header=BB2_1343 Depth=2
	s_cmp_eq_u32 s36, 0
	s_cbranch_scc1 .LBB2_1387
; %bb.1384:                             ;   in Loop: Header=BB2_1343 Depth=2
	s_mov_b64 s[22:23], 0
	v_pk_mov_b32 v[28:29], 0, 0
	s_mov_b64 s[24:25], 0
.LBB2_1385:                             ;   Parent Loop BB2_1314 Depth=1
                                        ;     Parent Loop BB2_1343 Depth=2
                                        ; =>    This Inner Loop Header: Depth=3
	s_add_u32 s38, s4, s24
	s_addc_u32 s39, s5, s25
	global_load_ubyte v2, v3, s[38:39]
	s_add_u32 s24, s24, 1
	s_addc_u32 s25, s25, 0
	s_waitcnt vmcnt(0)
	v_and_b32_e32 v2, 0xffff, v2
	v_lshlrev_b64 v[8:9], s22, v[2:3]
	s_add_u32 s22, s22, 8
	s_addc_u32 s23, s23, 0
	v_or_b32_e32 v28, v8, v28
	s_cmp_lg_u32 s36, s24
	v_or_b32_e32 v29, v9, v29
	s_cbranch_scc1 .LBB2_1385
	s_branch .LBB2_1388
.LBB2_1386:                             ;   in Loop: Header=BB2_1343 Depth=2
                                        ; implicit-def: $vgpr28_vgpr29
                                        ; implicit-def: $sgpr37
	s_branch .LBB2_1389
.LBB2_1387:                             ;   in Loop: Header=BB2_1343 Depth=2
	v_pk_mov_b32 v[28:29], 0, 0
.LBB2_1388:                             ;   in Loop: Header=BB2_1343 Depth=2
	s_mov_b32 s37, 0
	s_cbranch_execnz .LBB2_1390
.LBB2_1389:                             ;   in Loop: Header=BB2_1343 Depth=2
	global_load_dwordx2 v[28:29], v3, s[4:5]
	s_add_i32 s37, s36, -8
	s_add_u32 s4, s4, 8
	s_addc_u32 s5, s5, 0
.LBB2_1390:                             ;   in Loop: Header=BB2_1343 Depth=2
	s_cmp_gt_u32 s37, 7
	s_cbranch_scc1 .LBB2_1394
; %bb.1391:                             ;   in Loop: Header=BB2_1343 Depth=2
	s_cmp_eq_u32 s37, 0
	s_cbranch_scc1 .LBB2_1395
; %bb.1392:                             ;   in Loop: Header=BB2_1343 Depth=2
	s_mov_b64 s[22:23], 0
	v_pk_mov_b32 v[30:31], 0, 0
	s_mov_b64 s[24:25], s[4:5]
.LBB2_1393:                             ;   Parent Loop BB2_1314 Depth=1
                                        ;     Parent Loop BB2_1343 Depth=2
                                        ; =>    This Inner Loop Header: Depth=3
	global_load_ubyte v2, v3, s[24:25]
	s_add_i32 s37, s37, -1
	s_waitcnt vmcnt(0)
	v_and_b32_e32 v2, 0xffff, v2
	v_lshlrev_b64 v[8:9], s22, v[2:3]
	s_add_u32 s22, s22, 8
	s_addc_u32 s23, s23, 0
	s_add_u32 s24, s24, 1
	s_addc_u32 s25, s25, 0
	v_or_b32_e32 v30, v8, v30
	s_cmp_lg_u32 s37, 0
	v_or_b32_e32 v31, v9, v31
	s_cbranch_scc1 .LBB2_1393
	s_branch .LBB2_1396
.LBB2_1394:                             ;   in Loop: Header=BB2_1343 Depth=2
	s_branch .LBB2_1397
.LBB2_1395:                             ;   in Loop: Header=BB2_1343 Depth=2
	v_pk_mov_b32 v[30:31], 0, 0
.LBB2_1396:                             ;   in Loop: Header=BB2_1343 Depth=2
	s_cbranch_execnz .LBB2_1398
.LBB2_1397:                             ;   in Loop: Header=BB2_1343 Depth=2
	global_load_dwordx2 v[30:31], v3, s[4:5]
.LBB2_1398:                             ;   in Loop: Header=BB2_1343 Depth=2
	v_readfirstlane_b32 s4, v43
	v_cmp_eq_u32_e64 s[4:5], s4, v43
	v_pk_mov_b32 v[8:9], 0, 0
	s_and_saveexec_b64 s[22:23], s[4:5]
	s_cbranch_execz .LBB2_1404
; %bb.1399:                             ;   in Loop: Header=BB2_1343 Depth=2
	global_load_dwordx2 v[34:35], v3, s[34:35] offset:24 glc
	s_waitcnt vmcnt(0)
	buffer_invl2
	buffer_wbinvl1_vol
	global_load_dwordx2 v[8:9], v3, s[34:35] offset:40
	global_load_dwordx2 v[32:33], v3, s[34:35]
	s_waitcnt vmcnt(1)
	v_and_b32_e32 v2, v8, v34
	v_and_b32_e32 v8, v9, v35
	v_mul_lo_u32 v8, v8, 24
	v_mul_hi_u32 v9, v2, 24
	v_mul_lo_u32 v2, v2, 24
	v_add_u32_e32 v9, v9, v8
	s_waitcnt vmcnt(0)
	v_add_co_u32_e32 v8, vcc, v32, v2
	v_addc_co_u32_e32 v9, vcc, v33, v9, vcc
	global_load_dwordx2 v[32:33], v[8:9], off glc
	s_waitcnt vmcnt(0)
	global_atomic_cmpswap_x2 v[8:9], v3, v[32:35], s[34:35] offset:24 glc
	s_waitcnt vmcnt(0)
	buffer_invl2
	buffer_wbinvl1_vol
	v_cmp_ne_u64_e32 vcc, v[8:9], v[34:35]
	s_and_saveexec_b64 s[24:25], vcc
	s_cbranch_execz .LBB2_1403
; %bb.1400:                             ;   in Loop: Header=BB2_1343 Depth=2
	s_mov_b64 s[36:37], 0
.LBB2_1401:                             ;   Parent Loop BB2_1314 Depth=1
                                        ;     Parent Loop BB2_1343 Depth=2
                                        ; =>    This Inner Loop Header: Depth=3
	s_sleep 1
	global_load_dwordx2 v[32:33], v3, s[34:35] offset:40
	global_load_dwordx2 v[38:39], v3, s[34:35]
	v_pk_mov_b32 v[34:35], v[8:9], v[8:9] op_sel:[0,1]
	s_waitcnt vmcnt(1)
	v_and_b32_e32 v2, v32, v34
	s_waitcnt vmcnt(0)
	v_mad_u64_u32 v[8:9], s[38:39], v2, 24, v[38:39]
	v_and_b32_e32 v33, v33, v35
	v_mov_b32_e32 v2, v9
	v_mad_u64_u32 v[32:33], s[38:39], v33, 24, v[2:3]
	v_mov_b32_e32 v9, v32
	global_load_dwordx2 v[32:33], v[8:9], off glc
	s_waitcnt vmcnt(0)
	global_atomic_cmpswap_x2 v[8:9], v3, v[32:35], s[34:35] offset:24 glc
	s_waitcnt vmcnt(0)
	buffer_invl2
	buffer_wbinvl1_vol
	v_cmp_eq_u64_e32 vcc, v[8:9], v[34:35]
	s_or_b64 s[36:37], vcc, s[36:37]
	s_andn2_b64 exec, exec, s[36:37]
	s_cbranch_execnz .LBB2_1401
; %bb.1402:                             ;   in Loop: Header=BB2_1343 Depth=2
	s_or_b64 exec, exec, s[36:37]
.LBB2_1403:                             ;   in Loop: Header=BB2_1343 Depth=2
	s_or_b64 exec, exec, s[24:25]
.LBB2_1404:                             ;   in Loop: Header=BB2_1343 Depth=2
	s_or_b64 exec, exec, s[22:23]
	global_load_dwordx2 v[38:39], v3, s[34:35] offset:40
	global_load_dwordx4 v[32:35], v3, s[34:35]
	v_readfirstlane_b32 s22, v8
	v_readfirstlane_b32 s23, v9
	s_mov_b64 s[24:25], exec
	s_waitcnt vmcnt(1)
	v_readfirstlane_b32 s36, v38
	v_readfirstlane_b32 s37, v39
	s_and_b64 s[36:37], s[22:23], s[36:37]
	s_mul_i32 s38, s37, 24
	s_mul_hi_u32 s39, s36, 24
	s_mul_i32 s40, s36, 24
	s_add_i32 s38, s39, s38
	v_mov_b32_e32 v2, s38
	s_waitcnt vmcnt(0)
	v_add_co_u32_e32 v38, vcc, s40, v32
	v_addc_co_u32_e32 v39, vcc, v33, v2, vcc
	s_and_saveexec_b64 s[38:39], s[4:5]
	s_cbranch_execz .LBB2_1406
; %bb.1405:                             ;   in Loop: Header=BB2_1343 Depth=2
	v_pk_mov_b32 v[8:9], s[24:25], s[24:25] op_sel:[0,1]
	global_store_dwordx4 v[38:39], v[8:11], off offset:8
.LBB2_1406:                             ;   in Loop: Header=BB2_1343 Depth=2
	s_or_b64 exec, exec, s[38:39]
	s_lshl_b64 s[24:25], s[36:37], 12
	v_mov_b32_e32 v2, s25
	v_add_co_u32_e32 v8, vcc, s24, v34
	v_addc_co_u32_e32 v9, vcc, v35, v2, vcc
	v_or_b32_e32 v2, 0, v17
	v_or_b32_e32 v34, v16, v36
	v_cmp_gt_u64_e64 vcc, s[18:19], 56
	s_lshl_b32 s24, s20, 2
	v_cndmask_b32_e32 v17, v2, v17, vcc
	v_cndmask_b32_e32 v2, v34, v16, vcc
	s_add_i32 s24, s24, 28
	s_and_b32 s24, s24, 0x1e0
	v_and_b32_e32 v2, 0xffffff1f, v2
	v_or_b32_e32 v16, s24, v2
	v_readfirstlane_b32 s24, v8
	v_readfirstlane_b32 s25, v9
	s_nop 4
	global_store_dwordx4 v42, v[16:19], s[24:25]
	global_store_dwordx4 v42, v[20:23], s[24:25] offset:16
	global_store_dwordx4 v42, v[24:27], s[24:25] offset:32
	;; [unrolled: 1-line block ×3, first 2 shown]
	s_and_saveexec_b64 s[24:25], s[4:5]
	s_cbranch_execz .LBB2_1414
; %bb.1407:                             ;   in Loop: Header=BB2_1343 Depth=2
	global_load_dwordx2 v[24:25], v3, s[34:35] offset:32 glc
	global_load_dwordx2 v[16:17], v3, s[34:35] offset:40
	v_mov_b32_e32 v22, s22
	v_mov_b32_e32 v23, s23
	s_waitcnt vmcnt(0)
	v_readfirstlane_b32 s36, v16
	v_readfirstlane_b32 s37, v17
	s_and_b64 s[36:37], s[36:37], s[22:23]
	s_mul_i32 s37, s37, 24
	s_mul_hi_u32 s38, s36, 24
	s_mul_i32 s36, s36, 24
	s_add_i32 s37, s38, s37
	v_mov_b32_e32 v2, s37
	v_add_co_u32_e32 v20, vcc, s36, v32
	v_addc_co_u32_e32 v21, vcc, v33, v2, vcc
	global_store_dwordx2 v[20:21], v[24:25], off
	buffer_wbl2
	s_waitcnt vmcnt(0)
	global_atomic_cmpswap_x2 v[18:19], v3, v[22:25], s[34:35] offset:32 glc
	s_waitcnt vmcnt(0)
	v_cmp_ne_u64_e32 vcc, v[18:19], v[24:25]
	s_and_saveexec_b64 s[36:37], vcc
	s_cbranch_execz .LBB2_1410
; %bb.1408:                             ;   in Loop: Header=BB2_1343 Depth=2
	s_mov_b64 s[38:39], 0
.LBB2_1409:                             ;   Parent Loop BB2_1314 Depth=1
                                        ;     Parent Loop BB2_1343 Depth=2
                                        ; =>    This Inner Loop Header: Depth=3
	s_sleep 1
	global_store_dwordx2 v[20:21], v[18:19], off
	v_mov_b32_e32 v16, s22
	v_mov_b32_e32 v17, s23
	buffer_wbl2
	s_waitcnt vmcnt(0)
	global_atomic_cmpswap_x2 v[16:17], v3, v[16:19], s[34:35] offset:32 glc
	s_waitcnt vmcnt(0)
	v_cmp_eq_u64_e32 vcc, v[16:17], v[18:19]
	s_or_b64 s[38:39], vcc, s[38:39]
	v_pk_mov_b32 v[18:19], v[16:17], v[16:17] op_sel:[0,1]
	s_andn2_b64 exec, exec, s[38:39]
	s_cbranch_execnz .LBB2_1409
.LBB2_1410:                             ;   in Loop: Header=BB2_1343 Depth=2
	s_or_b64 exec, exec, s[36:37]
	global_load_dwordx2 v[16:17], v3, s[34:35] offset:16
	s_mov_b64 s[38:39], exec
	v_mbcnt_lo_u32_b32 v2, s38, 0
	v_mbcnt_hi_u32_b32 v2, s39, v2
	v_cmp_eq_u32_e32 vcc, 0, v2
	s_and_saveexec_b64 s[36:37], vcc
	s_cbranch_execz .LBB2_1412
; %bb.1411:                             ;   in Loop: Header=BB2_1343 Depth=2
	s_bcnt1_i32_b64 s38, s[38:39]
	v_mov_b32_e32 v2, s38
	buffer_wbl2
	s_waitcnt vmcnt(0)
	global_atomic_add_x2 v[16:17], v[2:3], off offset:8
.LBB2_1412:                             ;   in Loop: Header=BB2_1343 Depth=2
	s_or_b64 exec, exec, s[36:37]
	s_waitcnt vmcnt(0)
	global_load_dwordx2 v[18:19], v[16:17], off offset:16
	s_waitcnt vmcnt(0)
	v_cmp_eq_u64_e32 vcc, 0, v[18:19]
	s_cbranch_vccnz .LBB2_1414
; %bb.1413:                             ;   in Loop: Header=BB2_1343 Depth=2
	global_load_dword v2, v[16:17], off offset:24
	buffer_wbl2
	s_waitcnt vmcnt(0)
	global_store_dwordx2 v[18:19], v[2:3], off
	v_and_b32_e32 v2, 0xffffff, v2
	v_readfirstlane_b32 m0, v2
	s_sendmsg sendmsg(MSG_INTERRUPT)
.LBB2_1414:                             ;   in Loop: Header=BB2_1343 Depth=2
	s_or_b64 exec, exec, s[24:25]
	v_add_co_u32_e32 v8, vcc, v8, v42
	v_addc_co_u32_e32 v9, vcc, 0, v9, vcc
	s_branch .LBB2_1418
.LBB2_1415:                             ;   in Loop: Header=BB2_1418 Depth=3
	s_or_b64 exec, exec, s[24:25]
	v_readfirstlane_b32 s24, v2
	s_cmp_eq_u32 s24, 0
	s_cbranch_scc1 .LBB2_1417
; %bb.1416:                             ;   in Loop: Header=BB2_1418 Depth=3
	s_sleep 1
	s_cbranch_execnz .LBB2_1418
	s_branch .LBB2_1420
.LBB2_1417:                             ;   in Loop: Header=BB2_1343 Depth=2
	s_branch .LBB2_1420
.LBB2_1418:                             ;   Parent Loop BB2_1314 Depth=1
                                        ;     Parent Loop BB2_1343 Depth=2
                                        ; =>    This Inner Loop Header: Depth=3
	v_mov_b32_e32 v2, 1
	s_and_saveexec_b64 s[24:25], s[4:5]
	s_cbranch_execz .LBB2_1415
; %bb.1419:                             ;   in Loop: Header=BB2_1418 Depth=3
	global_load_dword v2, v[38:39], off offset:20 glc
	s_waitcnt vmcnt(0)
	buffer_invl2
	buffer_wbinvl1_vol
	v_and_b32_e32 v2, 1, v2
	s_branch .LBB2_1415
.LBB2_1420:                             ;   in Loop: Header=BB2_1343 Depth=2
	global_load_dwordx4 v[16:19], v[8:9], off
	s_and_saveexec_b64 s[24:25], s[4:5]
	s_cbranch_execz .LBB2_1342
; %bb.1421:                             ;   in Loop: Header=BB2_1343 Depth=2
	global_load_dwordx2 v[8:9], v3, s[34:35] offset:40
	global_load_dwordx2 v[22:23], v3, s[34:35] offset:24 glc
	global_load_dwordx2 v[24:25], v3, s[34:35]
	v_mov_b32_e32 v2, s23
	s_waitcnt vmcnt(2)
	v_add_co_u32_e32 v21, vcc, 1, v8
	v_addc_co_u32_e32 v26, vcc, 0, v9, vcc
	v_add_co_u32_e32 v18, vcc, s22, v21
	v_addc_co_u32_e32 v19, vcc, v26, v2, vcc
	v_cmp_eq_u64_e32 vcc, 0, v[18:19]
	v_cndmask_b32_e32 v19, v19, v26, vcc
	v_cndmask_b32_e32 v18, v18, v21, vcc
	v_and_b32_e32 v2, v19, v9
	v_and_b32_e32 v8, v18, v8
	v_mul_lo_u32 v2, v2, 24
	v_mul_hi_u32 v9, v8, 24
	v_mul_lo_u32 v8, v8, 24
	v_add_u32_e32 v2, v9, v2
	s_waitcnt vmcnt(0)
	v_add_co_u32_e32 v8, vcc, v24, v8
	v_addc_co_u32_e32 v9, vcc, v25, v2, vcc
	v_mov_b32_e32 v20, v22
	global_store_dwordx2 v[8:9], v[22:23], off
	v_mov_b32_e32 v21, v23
	buffer_wbl2
	s_waitcnt vmcnt(0)
	global_atomic_cmpswap_x2 v[20:21], v3, v[18:21], s[34:35] offset:24 glc
	s_waitcnt vmcnt(0)
	v_cmp_ne_u64_e32 vcc, v[20:21], v[22:23]
	s_and_b64 exec, exec, vcc
	s_cbranch_execz .LBB2_1342
; %bb.1422:                             ;   in Loop: Header=BB2_1343 Depth=2
	s_mov_b64 s[4:5], 0
.LBB2_1423:                             ;   Parent Loop BB2_1314 Depth=1
                                        ;     Parent Loop BB2_1343 Depth=2
                                        ; =>    This Inner Loop Header: Depth=3
	s_sleep 1
	global_store_dwordx2 v[8:9], v[20:21], off
	buffer_wbl2
	s_waitcnt vmcnt(0)
	global_atomic_cmpswap_x2 v[22:23], v3, v[18:21], s[34:35] offset:24 glc
	s_waitcnt vmcnt(0)
	v_cmp_eq_u64_e32 vcc, v[22:23], v[20:21]
	s_or_b64 s[4:5], vcc, s[4:5]
	v_pk_mov_b32 v[20:21], v[22:23], v[22:23] op_sel:[0,1]
	s_andn2_b64 exec, exec, s[4:5]
	s_cbranch_execnz .LBB2_1423
	s_branch .LBB2_1342
.LBB2_1424:                             ;   in Loop: Header=BB2_1314 Depth=1
	s_branch .LBB2_1453
.LBB2_1425:                             ;   in Loop: Header=BB2_1314 Depth=1
                                        ; implicit-def: $vgpr16_vgpr17
	s_cbranch_execz .LBB2_1453
; %bb.1426:                             ;   in Loop: Header=BB2_1314 Depth=1
	v_readfirstlane_b32 s4, v43
	v_cmp_eq_u32_e64 s[4:5], s4, v43
	v_pk_mov_b32 v[8:9], 0, 0
	s_and_saveexec_b64 s[16:17], s[4:5]
	s_cbranch_execz .LBB2_1432
; %bb.1427:                             ;   in Loop: Header=BB2_1314 Depth=1
	global_load_dwordx2 v[18:19], v3, s[34:35] offset:24 glc
	s_waitcnt vmcnt(0)
	buffer_invl2
	buffer_wbinvl1_vol
	global_load_dwordx2 v[8:9], v3, s[34:35] offset:40
	global_load_dwordx2 v[16:17], v3, s[34:35]
	s_waitcnt vmcnt(1)
	v_and_b32_e32 v2, v8, v18
	v_and_b32_e32 v8, v9, v19
	v_mul_lo_u32 v8, v8, 24
	v_mul_hi_u32 v9, v2, 24
	v_mul_lo_u32 v2, v2, 24
	v_add_u32_e32 v9, v9, v8
	s_waitcnt vmcnt(0)
	v_add_co_u32_e32 v8, vcc, v16, v2
	v_addc_co_u32_e32 v9, vcc, v17, v9, vcc
	global_load_dwordx2 v[16:17], v[8:9], off glc
	s_waitcnt vmcnt(0)
	global_atomic_cmpswap_x2 v[8:9], v3, v[16:19], s[34:35] offset:24 glc
	s_waitcnt vmcnt(0)
	buffer_invl2
	buffer_wbinvl1_vol
	v_cmp_ne_u64_e32 vcc, v[8:9], v[18:19]
	s_and_saveexec_b64 s[18:19], vcc
	s_cbranch_execz .LBB2_1431
; %bb.1428:                             ;   in Loop: Header=BB2_1314 Depth=1
	s_mov_b64 s[20:21], 0
.LBB2_1429:                             ;   Parent Loop BB2_1314 Depth=1
                                        ; =>  This Inner Loop Header: Depth=2
	s_sleep 1
	global_load_dwordx2 v[16:17], v3, s[34:35] offset:40
	global_load_dwordx2 v[20:21], v3, s[34:35]
	v_pk_mov_b32 v[18:19], v[8:9], v[8:9] op_sel:[0,1]
	s_waitcnt vmcnt(1)
	v_and_b32_e32 v2, v16, v18
	s_waitcnt vmcnt(0)
	v_mad_u64_u32 v[8:9], s[22:23], v2, 24, v[20:21]
	v_and_b32_e32 v17, v17, v19
	v_mov_b32_e32 v2, v9
	v_mad_u64_u32 v[16:17], s[22:23], v17, 24, v[2:3]
	v_mov_b32_e32 v9, v16
	global_load_dwordx2 v[16:17], v[8:9], off glc
	s_waitcnt vmcnt(0)
	global_atomic_cmpswap_x2 v[8:9], v3, v[16:19], s[34:35] offset:24 glc
	s_waitcnt vmcnt(0)
	buffer_invl2
	buffer_wbinvl1_vol
	v_cmp_eq_u64_e32 vcc, v[8:9], v[18:19]
	s_or_b64 s[20:21], vcc, s[20:21]
	s_andn2_b64 exec, exec, s[20:21]
	s_cbranch_execnz .LBB2_1429
; %bb.1430:                             ;   in Loop: Header=BB2_1314 Depth=1
	s_or_b64 exec, exec, s[20:21]
.LBB2_1431:                             ;   in Loop: Header=BB2_1314 Depth=1
	s_or_b64 exec, exec, s[18:19]
.LBB2_1432:                             ;   in Loop: Header=BB2_1314 Depth=1
	s_or_b64 exec, exec, s[16:17]
	global_load_dwordx2 v[20:21], v3, s[34:35] offset:40
	global_load_dwordx4 v[16:19], v3, s[34:35]
	v_readfirstlane_b32 s16, v8
	v_readfirstlane_b32 s17, v9
	s_mov_b64 s[18:19], exec
	s_waitcnt vmcnt(1)
	v_readfirstlane_b32 s20, v20
	v_readfirstlane_b32 s21, v21
	s_and_b64 s[20:21], s[16:17], s[20:21]
	s_mul_i32 s22, s21, 24
	s_mul_hi_u32 s23, s20, 24
	s_mul_i32 s24, s20, 24
	s_add_i32 s22, s23, s22
	v_mov_b32_e32 v2, s22
	s_waitcnt vmcnt(0)
	v_add_co_u32_e32 v20, vcc, s24, v16
	v_addc_co_u32_e32 v21, vcc, v17, v2, vcc
	s_and_saveexec_b64 s[22:23], s[4:5]
	s_cbranch_execz .LBB2_1434
; %bb.1433:                             ;   in Loop: Header=BB2_1314 Depth=1
	v_pk_mov_b32 v[8:9], s[18:19], s[18:19] op_sel:[0,1]
	global_store_dwordx4 v[20:21], v[8:11], off offset:8
.LBB2_1434:                             ;   in Loop: Header=BB2_1314 Depth=1
	s_or_b64 exec, exec, s[22:23]
	s_lshl_b64 s[18:19], s[20:21], 12
	v_mov_b32_e32 v2, s19
	v_add_co_u32_e32 v8, vcc, s18, v18
	v_addc_co_u32_e32 v9, vcc, v19, v2, vcc
	v_pk_mov_b32 v[24:25], s[10:11], s[10:11] op_sel:[0,1]
	v_and_or_b32 v0, v0, s29, 32
	v_mov_b32_e32 v2, v3
	v_readfirstlane_b32 s18, v8
	v_readfirstlane_b32 s19, v9
	v_pk_mov_b32 v[22:23], s[8:9], s[8:9] op_sel:[0,1]
	s_nop 3
	global_store_dwordx4 v42, v[0:3], s[18:19]
	global_store_dwordx4 v42, v[22:25], s[18:19] offset:16
	global_store_dwordx4 v42, v[22:25], s[18:19] offset:32
	;; [unrolled: 1-line block ×3, first 2 shown]
	s_and_saveexec_b64 s[18:19], s[4:5]
	s_cbranch_execz .LBB2_1442
; %bb.1435:                             ;   in Loop: Header=BB2_1314 Depth=1
	global_load_dwordx2 v[24:25], v3, s[34:35] offset:32 glc
	global_load_dwordx2 v[0:1], v3, s[34:35] offset:40
	v_mov_b32_e32 v22, s16
	v_mov_b32_e32 v23, s17
	s_waitcnt vmcnt(0)
	v_readfirstlane_b32 s20, v0
	v_readfirstlane_b32 s21, v1
	s_and_b64 s[20:21], s[20:21], s[16:17]
	s_mul_i32 s21, s21, 24
	s_mul_hi_u32 s22, s20, 24
	s_mul_i32 s20, s20, 24
	s_add_i32 s21, s22, s21
	v_mov_b32_e32 v1, s21
	v_add_co_u32_e32 v0, vcc, s20, v16
	v_addc_co_u32_e32 v1, vcc, v17, v1, vcc
	global_store_dwordx2 v[0:1], v[24:25], off
	buffer_wbl2
	s_waitcnt vmcnt(0)
	global_atomic_cmpswap_x2 v[18:19], v3, v[22:25], s[34:35] offset:32 glc
	s_waitcnt vmcnt(0)
	v_cmp_ne_u64_e32 vcc, v[18:19], v[24:25]
	s_and_saveexec_b64 s[20:21], vcc
	s_cbranch_execz .LBB2_1438
; %bb.1436:                             ;   in Loop: Header=BB2_1314 Depth=1
	s_mov_b64 s[22:23], 0
.LBB2_1437:                             ;   Parent Loop BB2_1314 Depth=1
                                        ; =>  This Inner Loop Header: Depth=2
	s_sleep 1
	global_store_dwordx2 v[0:1], v[18:19], off
	v_mov_b32_e32 v16, s16
	v_mov_b32_e32 v17, s17
	buffer_wbl2
	s_waitcnt vmcnt(0)
	global_atomic_cmpswap_x2 v[16:17], v3, v[16:19], s[34:35] offset:32 glc
	s_waitcnt vmcnt(0)
	v_cmp_eq_u64_e32 vcc, v[16:17], v[18:19]
	s_or_b64 s[22:23], vcc, s[22:23]
	v_pk_mov_b32 v[18:19], v[16:17], v[16:17] op_sel:[0,1]
	s_andn2_b64 exec, exec, s[22:23]
	s_cbranch_execnz .LBB2_1437
.LBB2_1438:                             ;   in Loop: Header=BB2_1314 Depth=1
	s_or_b64 exec, exec, s[20:21]
	global_load_dwordx2 v[0:1], v3, s[34:35] offset:16
	s_mov_b64 s[22:23], exec
	v_mbcnt_lo_u32_b32 v2, s22, 0
	v_mbcnt_hi_u32_b32 v2, s23, v2
	v_cmp_eq_u32_e32 vcc, 0, v2
	s_and_saveexec_b64 s[20:21], vcc
	s_cbranch_execz .LBB2_1440
; %bb.1439:                             ;   in Loop: Header=BB2_1314 Depth=1
	s_bcnt1_i32_b64 s22, s[22:23]
	v_mov_b32_e32 v2, s22
	buffer_wbl2
	s_waitcnt vmcnt(0)
	global_atomic_add_x2 v[0:1], v[2:3], off offset:8
.LBB2_1440:                             ;   in Loop: Header=BB2_1314 Depth=1
	s_or_b64 exec, exec, s[20:21]
	s_waitcnt vmcnt(0)
	global_load_dwordx2 v[16:17], v[0:1], off offset:16
	s_waitcnt vmcnt(0)
	v_cmp_eq_u64_e32 vcc, 0, v[16:17]
	s_cbranch_vccnz .LBB2_1442
; %bb.1441:                             ;   in Loop: Header=BB2_1314 Depth=1
	global_load_dword v2, v[0:1], off offset:24
	s_waitcnt vmcnt(0)
	v_and_b32_e32 v0, 0xffffff, v2
	v_readfirstlane_b32 m0, v0
	buffer_wbl2
	global_store_dwordx2 v[16:17], v[2:3], off
	s_sendmsg sendmsg(MSG_INTERRUPT)
.LBB2_1442:                             ;   in Loop: Header=BB2_1314 Depth=1
	s_or_b64 exec, exec, s[18:19]
	v_add_co_u32_e32 v0, vcc, v8, v42
	v_addc_co_u32_e32 v1, vcc, 0, v9, vcc
	s_branch .LBB2_1446
.LBB2_1443:                             ;   in Loop: Header=BB2_1446 Depth=2
	s_or_b64 exec, exec, s[18:19]
	v_readfirstlane_b32 s18, v2
	s_cmp_eq_u32 s18, 0
	s_cbranch_scc1 .LBB2_1445
; %bb.1444:                             ;   in Loop: Header=BB2_1446 Depth=2
	s_sleep 1
	s_cbranch_execnz .LBB2_1446
	s_branch .LBB2_1448
.LBB2_1445:                             ;   in Loop: Header=BB2_1314 Depth=1
	s_branch .LBB2_1448
.LBB2_1446:                             ;   Parent Loop BB2_1314 Depth=1
                                        ; =>  This Inner Loop Header: Depth=2
	v_mov_b32_e32 v2, 1
	s_and_saveexec_b64 s[18:19], s[4:5]
	s_cbranch_execz .LBB2_1443
; %bb.1447:                             ;   in Loop: Header=BB2_1446 Depth=2
	global_load_dword v2, v[20:21], off offset:20 glc
	s_waitcnt vmcnt(0)
	buffer_invl2
	buffer_wbinvl1_vol
	v_and_b32_e32 v2, 1, v2
	s_branch .LBB2_1443
.LBB2_1448:                             ;   in Loop: Header=BB2_1314 Depth=1
	global_load_dwordx2 v[16:17], v[0:1], off
	s_and_saveexec_b64 s[18:19], s[4:5]
	s_cbranch_execz .LBB2_1452
; %bb.1449:                             ;   in Loop: Header=BB2_1314 Depth=1
	global_load_dwordx2 v[0:1], v3, s[34:35] offset:40
	global_load_dwordx2 v[8:9], v3, s[34:35] offset:24 glc
	global_load_dwordx2 v[22:23], v3, s[34:35]
	v_mov_b32_e32 v2, s17
	s_waitcnt vmcnt(2)
	v_add_co_u32_e32 v21, vcc, 1, v0
	v_addc_co_u32_e32 v24, vcc, 0, v1, vcc
	v_add_co_u32_e32 v18, vcc, s16, v21
	v_addc_co_u32_e32 v19, vcc, v24, v2, vcc
	v_cmp_eq_u64_e32 vcc, 0, v[18:19]
	v_cndmask_b32_e32 v19, v19, v24, vcc
	v_cndmask_b32_e32 v18, v18, v21, vcc
	v_and_b32_e32 v1, v19, v1
	v_and_b32_e32 v0, v18, v0
	v_mul_lo_u32 v1, v1, 24
	v_mul_hi_u32 v2, v0, 24
	v_mul_lo_u32 v0, v0, 24
	v_add_u32_e32 v1, v2, v1
	s_waitcnt vmcnt(0)
	v_add_co_u32_e32 v0, vcc, v22, v0
	v_addc_co_u32_e32 v1, vcc, v23, v1, vcc
	v_mov_b32_e32 v20, v8
	global_store_dwordx2 v[0:1], v[8:9], off
	v_mov_b32_e32 v21, v9
	buffer_wbl2
	s_waitcnt vmcnt(0)
	global_atomic_cmpswap_x2 v[20:21], v3, v[18:21], s[34:35] offset:24 glc
	s_waitcnt vmcnt(0)
	v_cmp_ne_u64_e32 vcc, v[20:21], v[8:9]
	s_and_b64 exec, exec, vcc
	s_cbranch_execz .LBB2_1452
; %bb.1450:                             ;   in Loop: Header=BB2_1314 Depth=1
	s_mov_b64 s[4:5], 0
.LBB2_1451:                             ;   Parent Loop BB2_1314 Depth=1
                                        ; =>  This Inner Loop Header: Depth=2
	s_sleep 1
	global_store_dwordx2 v[0:1], v[20:21], off
	buffer_wbl2
	s_waitcnt vmcnt(0)
	global_atomic_cmpswap_x2 v[8:9], v3, v[18:21], s[34:35] offset:24 glc
	s_waitcnt vmcnt(0)
	v_cmp_eq_u64_e32 vcc, v[8:9], v[20:21]
	s_or_b64 s[4:5], vcc, s[4:5]
	v_pk_mov_b32 v[20:21], v[8:9], v[8:9] op_sel:[0,1]
	s_andn2_b64 exec, exec, s[4:5]
	s_cbranch_execnz .LBB2_1451
.LBB2_1452:                             ;   in Loop: Header=BB2_1314 Depth=1
	s_or_b64 exec, exec, s[18:19]
.LBB2_1453:                             ;   in Loop: Header=BB2_1314 Depth=1
	s_and_b32 s18, s33, 1
	s_getpc_b64 s[4:5]
	s_add_u32 s4, s4, .str.4@rel32@lo+4
	s_addc_u32 s5, s5, .str.4@rel32@hi+12
	s_getpc_b64 s[16:17]
	s_add_u32 s16, s16, .str.3@rel32@lo+4
	s_addc_u32 s17, s17, .str.3@rel32@hi+12
	s_cmp_eq_u32 s18, 0
	s_cselect_b32 s17, s5, s17
	s_cselect_b32 s16, s4, s16
	s_cmp_lg_u64 s[16:17], 0
	s_cselect_b64 s[4:5], -1, 0
	s_cmp_eq_u64 s[16:17], 0
	s_mov_b64 s[18:19], 0
	s_cbranch_scc1 .LBB2_1457
; %bb.1454:                             ;   in Loop: Header=BB2_1314 Depth=1
	s_add_u32 s18, s16, -1
	s_addc_u32 s19, s17, -1
.LBB2_1455:                             ;   Parent Loop BB2_1314 Depth=1
                                        ; =>  This Inner Loop Header: Depth=2
	global_load_ubyte v0, v3, s[18:19] offset:1
	s_add_u32 s20, s18, 1
	s_addc_u32 s21, s19, 0
	s_mov_b64 s[18:19], s[20:21]
	s_waitcnt vmcnt(0)
	v_cmp_ne_u16_e32 vcc, 0, v0
	s_cbranch_vccnz .LBB2_1455
; %bb.1456:                             ;   in Loop: Header=BB2_1314 Depth=1
	s_sub_u32 s18, s20, s16
	s_subb_u32 s19, s21, s17
	s_add_u32 s18, s18, 1
	s_addc_u32 s19, s19, 0
.LBB2_1457:                             ;   in Loop: Header=BB2_1314 Depth=1
	s_and_b64 vcc, exec, s[4:5]
	s_cbranch_vccz .LBB2_1542
; %bb.1458:                             ;   in Loop: Header=BB2_1314 Depth=1
	s_waitcnt vmcnt(0)
	v_and_b32_e32 v0, 2, v16
	v_and_b32_e32 v18, -3, v16
	v_mov_b32_e32 v19, v17
	s_branch .LBB2_1460
.LBB2_1459:                             ;   in Loop: Header=BB2_1460 Depth=2
	s_or_b64 exec, exec, s[24:25]
	s_sub_u32 s18, s18, s20
	s_subb_u32 s19, s19, s21
	s_add_u32 s16, s16, s20
	s_addc_u32 s17, s17, s21
	s_cmp_lg_u64 s[18:19], 0
	s_cbranch_scc0 .LBB2_1541
.LBB2_1460:                             ;   Parent Loop BB2_1314 Depth=1
                                        ; =>  This Loop Header: Depth=2
                                        ;       Child Loop BB2_1463 Depth 3
                                        ;       Child Loop BB2_1470 Depth 3
	;; [unrolled: 1-line block ×11, first 2 shown]
	v_cmp_lt_u64_e64 s[4:5], s[18:19], 56
	s_and_b64 s[4:5], s[4:5], exec
	v_cmp_gt_u64_e64 s[4:5], s[18:19], 7
	s_cselect_b32 s21, s19, 0
	s_cselect_b32 s20, s18, 56
	s_and_b64 vcc, exec, s[4:5]
	s_cbranch_vccnz .LBB2_1465
; %bb.1461:                             ;   in Loop: Header=BB2_1460 Depth=2
	s_mov_b64 s[4:5], 0
	s_cmp_eq_u64 s[18:19], 0
	s_waitcnt vmcnt(0)
	v_pk_mov_b32 v[20:21], 0, 0
	s_cbranch_scc1 .LBB2_1464
; %bb.1462:                             ;   in Loop: Header=BB2_1460 Depth=2
	s_lshl_b64 s[22:23], s[20:21], 3
	s_mov_b64 s[24:25], 0
	v_pk_mov_b32 v[20:21], 0, 0
	s_mov_b64 s[36:37], s[16:17]
.LBB2_1463:                             ;   Parent Loop BB2_1314 Depth=1
                                        ;     Parent Loop BB2_1460 Depth=2
                                        ; =>    This Inner Loop Header: Depth=3
	global_load_ubyte v1, v3, s[36:37]
	s_waitcnt vmcnt(0)
	v_and_b32_e32 v2, 0xffff, v1
	v_lshlrev_b64 v[8:9], s24, v[2:3]
	s_add_u32 s24, s24, 8
	s_addc_u32 s25, s25, 0
	s_add_u32 s36, s36, 1
	s_addc_u32 s37, s37, 0
	v_or_b32_e32 v20, v8, v20
	s_cmp_lg_u32 s22, s24
	v_or_b32_e32 v21, v9, v21
	s_cbranch_scc1 .LBB2_1463
.LBB2_1464:                             ;   in Loop: Header=BB2_1460 Depth=2
	s_mov_b32 s36, 0
	s_andn2_b64 vcc, exec, s[4:5]
	s_mov_b64 s[4:5], s[16:17]
	s_cbranch_vccz .LBB2_1466
	s_branch .LBB2_1467
.LBB2_1465:                             ;   in Loop: Header=BB2_1460 Depth=2
                                        ; implicit-def: $vgpr20_vgpr21
                                        ; implicit-def: $sgpr36
	s_mov_b64 s[4:5], s[16:17]
.LBB2_1466:                             ;   in Loop: Header=BB2_1460 Depth=2
	global_load_dwordx2 v[20:21], v3, s[16:17]
	s_add_i32 s36, s20, -8
	s_add_u32 s4, s16, 8
	s_addc_u32 s5, s17, 0
.LBB2_1467:                             ;   in Loop: Header=BB2_1460 Depth=2
	s_cmp_gt_u32 s36, 7
	s_cbranch_scc1 .LBB2_1471
; %bb.1468:                             ;   in Loop: Header=BB2_1460 Depth=2
	s_cmp_eq_u32 s36, 0
	s_cbranch_scc1 .LBB2_1472
; %bb.1469:                             ;   in Loop: Header=BB2_1460 Depth=2
	s_mov_b64 s[22:23], 0
	v_pk_mov_b32 v[22:23], 0, 0
	s_mov_b64 s[24:25], 0
.LBB2_1470:                             ;   Parent Loop BB2_1314 Depth=1
                                        ;     Parent Loop BB2_1460 Depth=2
                                        ; =>    This Inner Loop Header: Depth=3
	s_add_u32 s38, s4, s24
	s_addc_u32 s39, s5, s25
	global_load_ubyte v1, v3, s[38:39]
	s_add_u32 s24, s24, 1
	s_addc_u32 s25, s25, 0
	s_waitcnt vmcnt(0)
	v_and_b32_e32 v2, 0xffff, v1
	v_lshlrev_b64 v[8:9], s22, v[2:3]
	s_add_u32 s22, s22, 8
	s_addc_u32 s23, s23, 0
	v_or_b32_e32 v22, v8, v22
	s_cmp_lg_u32 s36, s24
	v_or_b32_e32 v23, v9, v23
	s_cbranch_scc1 .LBB2_1470
	s_branch .LBB2_1473
.LBB2_1471:                             ;   in Loop: Header=BB2_1460 Depth=2
                                        ; implicit-def: $vgpr22_vgpr23
                                        ; implicit-def: $sgpr37
	s_branch .LBB2_1474
.LBB2_1472:                             ;   in Loop: Header=BB2_1460 Depth=2
	v_pk_mov_b32 v[22:23], 0, 0
.LBB2_1473:                             ;   in Loop: Header=BB2_1460 Depth=2
	s_mov_b32 s37, 0
	s_cbranch_execnz .LBB2_1475
.LBB2_1474:                             ;   in Loop: Header=BB2_1460 Depth=2
	global_load_dwordx2 v[22:23], v3, s[4:5]
	s_add_i32 s37, s36, -8
	s_add_u32 s4, s4, 8
	s_addc_u32 s5, s5, 0
.LBB2_1475:                             ;   in Loop: Header=BB2_1460 Depth=2
	s_cmp_gt_u32 s37, 7
	s_cbranch_scc1 .LBB2_1479
; %bb.1476:                             ;   in Loop: Header=BB2_1460 Depth=2
	s_cmp_eq_u32 s37, 0
	s_cbranch_scc1 .LBB2_1480
; %bb.1477:                             ;   in Loop: Header=BB2_1460 Depth=2
	s_mov_b64 s[22:23], 0
	v_pk_mov_b32 v[24:25], 0, 0
	s_mov_b64 s[24:25], 0
.LBB2_1478:                             ;   Parent Loop BB2_1314 Depth=1
                                        ;     Parent Loop BB2_1460 Depth=2
                                        ; =>    This Inner Loop Header: Depth=3
	s_add_u32 s38, s4, s24
	s_addc_u32 s39, s5, s25
	global_load_ubyte v1, v3, s[38:39]
	s_add_u32 s24, s24, 1
	s_addc_u32 s25, s25, 0
	s_waitcnt vmcnt(0)
	v_and_b32_e32 v2, 0xffff, v1
	v_lshlrev_b64 v[8:9], s22, v[2:3]
	s_add_u32 s22, s22, 8
	s_addc_u32 s23, s23, 0
	v_or_b32_e32 v24, v8, v24
	s_cmp_lg_u32 s37, s24
	v_or_b32_e32 v25, v9, v25
	s_cbranch_scc1 .LBB2_1478
	s_branch .LBB2_1481
.LBB2_1479:                             ;   in Loop: Header=BB2_1460 Depth=2
                                        ; implicit-def: $sgpr36
	s_branch .LBB2_1482
.LBB2_1480:                             ;   in Loop: Header=BB2_1460 Depth=2
	v_pk_mov_b32 v[24:25], 0, 0
.LBB2_1481:                             ;   in Loop: Header=BB2_1460 Depth=2
	s_mov_b32 s36, 0
	s_cbranch_execnz .LBB2_1483
.LBB2_1482:                             ;   in Loop: Header=BB2_1460 Depth=2
	global_load_dwordx2 v[24:25], v3, s[4:5]
	s_add_i32 s36, s37, -8
	s_add_u32 s4, s4, 8
	s_addc_u32 s5, s5, 0
.LBB2_1483:                             ;   in Loop: Header=BB2_1460 Depth=2
	s_cmp_gt_u32 s36, 7
	s_cbranch_scc1 .LBB2_1487
; %bb.1484:                             ;   in Loop: Header=BB2_1460 Depth=2
	s_cmp_eq_u32 s36, 0
	s_cbranch_scc1 .LBB2_1488
; %bb.1485:                             ;   in Loop: Header=BB2_1460 Depth=2
	s_mov_b64 s[22:23], 0
	v_pk_mov_b32 v[26:27], 0, 0
	s_mov_b64 s[24:25], 0
.LBB2_1486:                             ;   Parent Loop BB2_1314 Depth=1
                                        ;     Parent Loop BB2_1460 Depth=2
                                        ; =>    This Inner Loop Header: Depth=3
	s_add_u32 s38, s4, s24
	s_addc_u32 s39, s5, s25
	global_load_ubyte v1, v3, s[38:39]
	s_add_u32 s24, s24, 1
	s_addc_u32 s25, s25, 0
	s_waitcnt vmcnt(0)
	v_and_b32_e32 v2, 0xffff, v1
	v_lshlrev_b64 v[8:9], s22, v[2:3]
	s_add_u32 s22, s22, 8
	s_addc_u32 s23, s23, 0
	v_or_b32_e32 v26, v8, v26
	s_cmp_lg_u32 s36, s24
	v_or_b32_e32 v27, v9, v27
	s_cbranch_scc1 .LBB2_1486
	s_branch .LBB2_1489
.LBB2_1487:                             ;   in Loop: Header=BB2_1460 Depth=2
                                        ; implicit-def: $vgpr26_vgpr27
                                        ; implicit-def: $sgpr37
	s_branch .LBB2_1490
.LBB2_1488:                             ;   in Loop: Header=BB2_1460 Depth=2
	v_pk_mov_b32 v[26:27], 0, 0
.LBB2_1489:                             ;   in Loop: Header=BB2_1460 Depth=2
	s_mov_b32 s37, 0
	s_cbranch_execnz .LBB2_1491
.LBB2_1490:                             ;   in Loop: Header=BB2_1460 Depth=2
	global_load_dwordx2 v[26:27], v3, s[4:5]
	s_add_i32 s37, s36, -8
	s_add_u32 s4, s4, 8
	s_addc_u32 s5, s5, 0
.LBB2_1491:                             ;   in Loop: Header=BB2_1460 Depth=2
	s_cmp_gt_u32 s37, 7
	s_cbranch_scc1 .LBB2_1495
; %bb.1492:                             ;   in Loop: Header=BB2_1460 Depth=2
	s_cmp_eq_u32 s37, 0
	s_cbranch_scc1 .LBB2_1496
; %bb.1493:                             ;   in Loop: Header=BB2_1460 Depth=2
	s_mov_b64 s[22:23], 0
	v_pk_mov_b32 v[28:29], 0, 0
	s_mov_b64 s[24:25], 0
.LBB2_1494:                             ;   Parent Loop BB2_1314 Depth=1
                                        ;     Parent Loop BB2_1460 Depth=2
                                        ; =>    This Inner Loop Header: Depth=3
	s_add_u32 s38, s4, s24
	s_addc_u32 s39, s5, s25
	global_load_ubyte v1, v3, s[38:39]
	s_add_u32 s24, s24, 1
	s_addc_u32 s25, s25, 0
	s_waitcnt vmcnt(0)
	v_and_b32_e32 v2, 0xffff, v1
	v_lshlrev_b64 v[8:9], s22, v[2:3]
	s_add_u32 s22, s22, 8
	s_addc_u32 s23, s23, 0
	v_or_b32_e32 v28, v8, v28
	s_cmp_lg_u32 s37, s24
	v_or_b32_e32 v29, v9, v29
	s_cbranch_scc1 .LBB2_1494
	s_branch .LBB2_1497
.LBB2_1495:                             ;   in Loop: Header=BB2_1460 Depth=2
                                        ; implicit-def: $sgpr36
	s_branch .LBB2_1498
.LBB2_1496:                             ;   in Loop: Header=BB2_1460 Depth=2
	v_pk_mov_b32 v[28:29], 0, 0
.LBB2_1497:                             ;   in Loop: Header=BB2_1460 Depth=2
	s_mov_b32 s36, 0
	s_cbranch_execnz .LBB2_1499
.LBB2_1498:                             ;   in Loop: Header=BB2_1460 Depth=2
	global_load_dwordx2 v[28:29], v3, s[4:5]
	s_add_i32 s36, s37, -8
	s_add_u32 s4, s4, 8
	s_addc_u32 s5, s5, 0
.LBB2_1499:                             ;   in Loop: Header=BB2_1460 Depth=2
	s_cmp_gt_u32 s36, 7
	s_cbranch_scc1 .LBB2_1503
; %bb.1500:                             ;   in Loop: Header=BB2_1460 Depth=2
	s_cmp_eq_u32 s36, 0
	s_cbranch_scc1 .LBB2_1504
; %bb.1501:                             ;   in Loop: Header=BB2_1460 Depth=2
	s_mov_b64 s[22:23], 0
	v_pk_mov_b32 v[30:31], 0, 0
	s_mov_b64 s[24:25], 0
.LBB2_1502:                             ;   Parent Loop BB2_1314 Depth=1
                                        ;     Parent Loop BB2_1460 Depth=2
                                        ; =>    This Inner Loop Header: Depth=3
	s_add_u32 s38, s4, s24
	s_addc_u32 s39, s5, s25
	global_load_ubyte v1, v3, s[38:39]
	s_add_u32 s24, s24, 1
	s_addc_u32 s25, s25, 0
	s_waitcnt vmcnt(0)
	v_and_b32_e32 v2, 0xffff, v1
	v_lshlrev_b64 v[8:9], s22, v[2:3]
	s_add_u32 s22, s22, 8
	s_addc_u32 s23, s23, 0
	v_or_b32_e32 v30, v8, v30
	s_cmp_lg_u32 s36, s24
	v_or_b32_e32 v31, v9, v31
	s_cbranch_scc1 .LBB2_1502
	s_branch .LBB2_1505
.LBB2_1503:                             ;   in Loop: Header=BB2_1460 Depth=2
                                        ; implicit-def: $vgpr30_vgpr31
                                        ; implicit-def: $sgpr37
	s_branch .LBB2_1506
.LBB2_1504:                             ;   in Loop: Header=BB2_1460 Depth=2
	v_pk_mov_b32 v[30:31], 0, 0
.LBB2_1505:                             ;   in Loop: Header=BB2_1460 Depth=2
	s_mov_b32 s37, 0
	s_cbranch_execnz .LBB2_1507
.LBB2_1506:                             ;   in Loop: Header=BB2_1460 Depth=2
	global_load_dwordx2 v[30:31], v3, s[4:5]
	s_add_i32 s37, s36, -8
	s_add_u32 s4, s4, 8
	s_addc_u32 s5, s5, 0
.LBB2_1507:                             ;   in Loop: Header=BB2_1460 Depth=2
	s_cmp_gt_u32 s37, 7
	s_cbranch_scc1 .LBB2_1511
; %bb.1508:                             ;   in Loop: Header=BB2_1460 Depth=2
	s_cmp_eq_u32 s37, 0
	s_cbranch_scc1 .LBB2_1512
; %bb.1509:                             ;   in Loop: Header=BB2_1460 Depth=2
	s_mov_b64 s[22:23], 0
	v_pk_mov_b32 v[32:33], 0, 0
	s_mov_b64 s[24:25], s[4:5]
.LBB2_1510:                             ;   Parent Loop BB2_1314 Depth=1
                                        ;     Parent Loop BB2_1460 Depth=2
                                        ; =>    This Inner Loop Header: Depth=3
	global_load_ubyte v1, v3, s[24:25]
	s_add_i32 s37, s37, -1
	s_waitcnt vmcnt(0)
	v_and_b32_e32 v2, 0xffff, v1
	v_lshlrev_b64 v[8:9], s22, v[2:3]
	s_add_u32 s22, s22, 8
	s_addc_u32 s23, s23, 0
	s_add_u32 s24, s24, 1
	s_addc_u32 s25, s25, 0
	v_or_b32_e32 v32, v8, v32
	s_cmp_lg_u32 s37, 0
	v_or_b32_e32 v33, v9, v33
	s_cbranch_scc1 .LBB2_1510
	s_branch .LBB2_1513
.LBB2_1511:                             ;   in Loop: Header=BB2_1460 Depth=2
	s_branch .LBB2_1514
.LBB2_1512:                             ;   in Loop: Header=BB2_1460 Depth=2
	v_pk_mov_b32 v[32:33], 0, 0
.LBB2_1513:                             ;   in Loop: Header=BB2_1460 Depth=2
	s_cbranch_execnz .LBB2_1515
.LBB2_1514:                             ;   in Loop: Header=BB2_1460 Depth=2
	global_load_dwordx2 v[32:33], v3, s[4:5]
.LBB2_1515:                             ;   in Loop: Header=BB2_1460 Depth=2
	v_readfirstlane_b32 s4, v43
	v_cmp_eq_u32_e64 s[4:5], s4, v43
	v_pk_mov_b32 v[8:9], 0, 0
	s_and_saveexec_b64 s[22:23], s[4:5]
	s_cbranch_execz .LBB2_1521
; %bb.1516:                             ;   in Loop: Header=BB2_1460 Depth=2
	global_load_dwordx2 v[36:37], v3, s[34:35] offset:24 glc
	s_waitcnt vmcnt(0)
	buffer_invl2
	buffer_wbinvl1_vol
	global_load_dwordx2 v[8:9], v3, s[34:35] offset:40
	global_load_dwordx2 v[34:35], v3, s[34:35]
	s_waitcnt vmcnt(1)
	v_and_b32_e32 v1, v8, v36
	v_and_b32_e32 v2, v9, v37
	v_mul_lo_u32 v2, v2, 24
	v_mul_hi_u32 v8, v1, 24
	v_mul_lo_u32 v1, v1, 24
	v_add_u32_e32 v2, v8, v2
	s_waitcnt vmcnt(0)
	v_add_co_u32_e32 v8, vcc, v34, v1
	v_addc_co_u32_e32 v9, vcc, v35, v2, vcc
	global_load_dwordx2 v[34:35], v[8:9], off glc
	s_waitcnt vmcnt(0)
	global_atomic_cmpswap_x2 v[8:9], v3, v[34:37], s[34:35] offset:24 glc
	s_waitcnt vmcnt(0)
	buffer_invl2
	buffer_wbinvl1_vol
	v_cmp_ne_u64_e32 vcc, v[8:9], v[36:37]
	s_and_saveexec_b64 s[24:25], vcc
	s_cbranch_execz .LBB2_1520
; %bb.1517:                             ;   in Loop: Header=BB2_1460 Depth=2
	s_mov_b64 s[36:37], 0
.LBB2_1518:                             ;   Parent Loop BB2_1314 Depth=1
                                        ;     Parent Loop BB2_1460 Depth=2
                                        ; =>    This Inner Loop Header: Depth=3
	s_sleep 1
	global_load_dwordx2 v[34:35], v3, s[34:35] offset:40
	global_load_dwordx2 v[38:39], v3, s[34:35]
	v_pk_mov_b32 v[36:37], v[8:9], v[8:9] op_sel:[0,1]
	s_waitcnt vmcnt(1)
	v_and_b32_e32 v2, v34, v36
	s_waitcnt vmcnt(0)
	v_mad_u64_u32 v[8:9], s[38:39], v2, 24, v[38:39]
	v_and_b32_e32 v1, v35, v37
	v_mov_b32_e32 v2, v9
	v_mad_u64_u32 v[34:35], s[38:39], v1, 24, v[2:3]
	v_mov_b32_e32 v9, v34
	global_load_dwordx2 v[34:35], v[8:9], off glc
	s_waitcnt vmcnt(0)
	global_atomic_cmpswap_x2 v[8:9], v3, v[34:37], s[34:35] offset:24 glc
	s_waitcnt vmcnt(0)
	buffer_invl2
	buffer_wbinvl1_vol
	v_cmp_eq_u64_e32 vcc, v[8:9], v[36:37]
	s_or_b64 s[36:37], vcc, s[36:37]
	s_andn2_b64 exec, exec, s[36:37]
	s_cbranch_execnz .LBB2_1518
; %bb.1519:                             ;   in Loop: Header=BB2_1460 Depth=2
	s_or_b64 exec, exec, s[36:37]
.LBB2_1520:                             ;   in Loop: Header=BB2_1460 Depth=2
	s_or_b64 exec, exec, s[24:25]
.LBB2_1521:                             ;   in Loop: Header=BB2_1460 Depth=2
	s_or_b64 exec, exec, s[22:23]
	global_load_dwordx2 v[38:39], v3, s[34:35] offset:40
	global_load_dwordx4 v[34:37], v3, s[34:35]
	v_readfirstlane_b32 s22, v8
	v_readfirstlane_b32 s23, v9
	s_mov_b64 s[24:25], exec
	s_waitcnt vmcnt(1)
	v_readfirstlane_b32 s36, v38
	v_readfirstlane_b32 s37, v39
	s_and_b64 s[36:37], s[22:23], s[36:37]
	s_mul_i32 s38, s37, 24
	s_mul_hi_u32 s39, s36, 24
	s_mul_i32 s40, s36, 24
	s_add_i32 s38, s39, s38
	v_mov_b32_e32 v1, s38
	s_waitcnt vmcnt(0)
	v_add_co_u32_e32 v38, vcc, s40, v34
	v_addc_co_u32_e32 v39, vcc, v35, v1, vcc
	s_and_saveexec_b64 s[38:39], s[4:5]
	s_cbranch_execz .LBB2_1523
; %bb.1522:                             ;   in Loop: Header=BB2_1460 Depth=2
	v_pk_mov_b32 v[8:9], s[24:25], s[24:25] op_sel:[0,1]
	global_store_dwordx4 v[38:39], v[8:11], off offset:8
.LBB2_1523:                             ;   in Loop: Header=BB2_1460 Depth=2
	s_or_b64 exec, exec, s[38:39]
	s_lshl_b64 s[24:25], s[36:37], 12
	v_mov_b32_e32 v1, s25
	v_add_co_u32_e32 v8, vcc, s24, v36
	v_addc_co_u32_e32 v1, vcc, v37, v1, vcc
	v_or_b32_e32 v2, 0, v19
	v_or_b32_e32 v9, v18, v0
	v_cmp_gt_u64_e64 vcc, s[18:19], 56
	s_lshl_b32 s24, s20, 2
	v_cndmask_b32_e32 v19, v2, v19, vcc
	v_cndmask_b32_e32 v2, v9, v18, vcc
	s_add_i32 s24, s24, 28
	s_and_b32 s24, s24, 0x1e0
	v_and_b32_e32 v2, 0xffffff1f, v2
	v_or_b32_e32 v18, s24, v2
	v_readfirstlane_b32 s24, v8
	v_readfirstlane_b32 s25, v1
	s_nop 4
	global_store_dwordx4 v42, v[18:21], s[24:25]
	global_store_dwordx4 v42, v[22:25], s[24:25] offset:16
	global_store_dwordx4 v42, v[26:29], s[24:25] offset:32
	;; [unrolled: 1-line block ×3, first 2 shown]
	s_and_saveexec_b64 s[24:25], s[4:5]
	s_cbranch_execz .LBB2_1531
; %bb.1524:                             ;   in Loop: Header=BB2_1460 Depth=2
	global_load_dwordx2 v[26:27], v3, s[34:35] offset:32 glc
	global_load_dwordx2 v[18:19], v3, s[34:35] offset:40
	v_mov_b32_e32 v24, s22
	v_mov_b32_e32 v25, s23
	s_waitcnt vmcnt(0)
	v_readfirstlane_b32 s36, v18
	v_readfirstlane_b32 s37, v19
	s_and_b64 s[36:37], s[36:37], s[22:23]
	s_mul_i32 s37, s37, 24
	s_mul_hi_u32 s38, s36, 24
	s_mul_i32 s36, s36, 24
	s_add_i32 s37, s38, s37
	v_mov_b32_e32 v2, s37
	v_add_co_u32_e32 v22, vcc, s36, v34
	v_addc_co_u32_e32 v23, vcc, v35, v2, vcc
	global_store_dwordx2 v[22:23], v[26:27], off
	buffer_wbl2
	s_waitcnt vmcnt(0)
	global_atomic_cmpswap_x2 v[20:21], v3, v[24:27], s[34:35] offset:32 glc
	s_waitcnt vmcnt(0)
	v_cmp_ne_u64_e32 vcc, v[20:21], v[26:27]
	s_and_saveexec_b64 s[36:37], vcc
	s_cbranch_execz .LBB2_1527
; %bb.1525:                             ;   in Loop: Header=BB2_1460 Depth=2
	s_mov_b64 s[38:39], 0
.LBB2_1526:                             ;   Parent Loop BB2_1314 Depth=1
                                        ;     Parent Loop BB2_1460 Depth=2
                                        ; =>    This Inner Loop Header: Depth=3
	s_sleep 1
	global_store_dwordx2 v[22:23], v[20:21], off
	v_mov_b32_e32 v18, s22
	v_mov_b32_e32 v19, s23
	buffer_wbl2
	s_waitcnt vmcnt(0)
	global_atomic_cmpswap_x2 v[18:19], v3, v[18:21], s[34:35] offset:32 glc
	s_waitcnt vmcnt(0)
	v_cmp_eq_u64_e32 vcc, v[18:19], v[20:21]
	s_or_b64 s[38:39], vcc, s[38:39]
	v_pk_mov_b32 v[20:21], v[18:19], v[18:19] op_sel:[0,1]
	s_andn2_b64 exec, exec, s[38:39]
	s_cbranch_execnz .LBB2_1526
.LBB2_1527:                             ;   in Loop: Header=BB2_1460 Depth=2
	s_or_b64 exec, exec, s[36:37]
	global_load_dwordx2 v[18:19], v3, s[34:35] offset:16
	s_mov_b64 s[38:39], exec
	v_mbcnt_lo_u32_b32 v2, s38, 0
	v_mbcnt_hi_u32_b32 v2, s39, v2
	v_cmp_eq_u32_e32 vcc, 0, v2
	s_and_saveexec_b64 s[36:37], vcc
	s_cbranch_execz .LBB2_1529
; %bb.1528:                             ;   in Loop: Header=BB2_1460 Depth=2
	s_bcnt1_i32_b64 s38, s[38:39]
	v_mov_b32_e32 v2, s38
	buffer_wbl2
	s_waitcnt vmcnt(0)
	global_atomic_add_x2 v[18:19], v[2:3], off offset:8
.LBB2_1529:                             ;   in Loop: Header=BB2_1460 Depth=2
	s_or_b64 exec, exec, s[36:37]
	s_waitcnt vmcnt(0)
	global_load_dwordx2 v[20:21], v[18:19], off offset:16
	s_waitcnt vmcnt(0)
	v_cmp_eq_u64_e32 vcc, 0, v[20:21]
	s_cbranch_vccnz .LBB2_1531
; %bb.1530:                             ;   in Loop: Header=BB2_1460 Depth=2
	global_load_dword v2, v[18:19], off offset:24
	buffer_wbl2
	s_waitcnt vmcnt(0)
	global_store_dwordx2 v[20:21], v[2:3], off
	v_and_b32_e32 v2, 0xffffff, v2
	v_readfirstlane_b32 m0, v2
	s_sendmsg sendmsg(MSG_INTERRUPT)
.LBB2_1531:                             ;   in Loop: Header=BB2_1460 Depth=2
	s_or_b64 exec, exec, s[24:25]
	v_add_co_u32_e32 v8, vcc, v8, v42
	v_addc_co_u32_e32 v9, vcc, 0, v1, vcc
	s_branch .LBB2_1535
.LBB2_1532:                             ;   in Loop: Header=BB2_1535 Depth=3
	s_or_b64 exec, exec, s[24:25]
	v_readfirstlane_b32 s24, v1
	s_cmp_eq_u32 s24, 0
	s_cbranch_scc1 .LBB2_1534
; %bb.1533:                             ;   in Loop: Header=BB2_1535 Depth=3
	s_sleep 1
	s_cbranch_execnz .LBB2_1535
	s_branch .LBB2_1537
.LBB2_1534:                             ;   in Loop: Header=BB2_1460 Depth=2
	s_branch .LBB2_1537
.LBB2_1535:                             ;   Parent Loop BB2_1314 Depth=1
                                        ;     Parent Loop BB2_1460 Depth=2
                                        ; =>    This Inner Loop Header: Depth=3
	v_mov_b32_e32 v1, 1
	s_and_saveexec_b64 s[24:25], s[4:5]
	s_cbranch_execz .LBB2_1532
; %bb.1536:                             ;   in Loop: Header=BB2_1535 Depth=3
	global_load_dword v1, v[38:39], off offset:20 glc
	s_waitcnt vmcnt(0)
	buffer_invl2
	buffer_wbinvl1_vol
	v_and_b32_e32 v1, 1, v1
	s_branch .LBB2_1532
.LBB2_1537:                             ;   in Loop: Header=BB2_1460 Depth=2
	global_load_dwordx4 v[18:21], v[8:9], off
	s_and_saveexec_b64 s[24:25], s[4:5]
	s_cbranch_execz .LBB2_1459
; %bb.1538:                             ;   in Loop: Header=BB2_1460 Depth=2
	global_load_dwordx2 v[8:9], v3, s[34:35] offset:40
	global_load_dwordx2 v[24:25], v3, s[34:35] offset:24 glc
	global_load_dwordx2 v[26:27], v3, s[34:35]
	v_mov_b32_e32 v1, s23
	s_waitcnt vmcnt(2)
	v_add_co_u32_e32 v2, vcc, 1, v8
	v_addc_co_u32_e32 v23, vcc, 0, v9, vcc
	v_add_co_u32_e32 v20, vcc, s22, v2
	v_addc_co_u32_e32 v21, vcc, v23, v1, vcc
	v_cmp_eq_u64_e32 vcc, 0, v[20:21]
	v_cndmask_b32_e32 v21, v21, v23, vcc
	v_cndmask_b32_e32 v20, v20, v2, vcc
	v_and_b32_e32 v1, v21, v9
	v_and_b32_e32 v2, v20, v8
	v_mul_lo_u32 v1, v1, 24
	v_mul_hi_u32 v8, v2, 24
	v_mul_lo_u32 v2, v2, 24
	v_add_u32_e32 v1, v8, v1
	s_waitcnt vmcnt(0)
	v_add_co_u32_e32 v8, vcc, v26, v2
	v_addc_co_u32_e32 v9, vcc, v27, v1, vcc
	v_mov_b32_e32 v22, v24
	global_store_dwordx2 v[8:9], v[24:25], off
	v_mov_b32_e32 v23, v25
	buffer_wbl2
	s_waitcnt vmcnt(0)
	global_atomic_cmpswap_x2 v[22:23], v3, v[20:23], s[34:35] offset:24 glc
	s_waitcnt vmcnt(0)
	v_cmp_ne_u64_e32 vcc, v[22:23], v[24:25]
	s_and_b64 exec, exec, vcc
	s_cbranch_execz .LBB2_1459
; %bb.1539:                             ;   in Loop: Header=BB2_1460 Depth=2
	s_mov_b64 s[4:5], 0
.LBB2_1540:                             ;   Parent Loop BB2_1314 Depth=1
                                        ;     Parent Loop BB2_1460 Depth=2
                                        ; =>    This Inner Loop Header: Depth=3
	s_sleep 1
	global_store_dwordx2 v[8:9], v[22:23], off
	buffer_wbl2
	s_waitcnt vmcnt(0)
	global_atomic_cmpswap_x2 v[24:25], v3, v[20:23], s[34:35] offset:24 glc
	s_waitcnt vmcnt(0)
	v_cmp_eq_u64_e32 vcc, v[24:25], v[22:23]
	s_or_b64 s[4:5], vcc, s[4:5]
	v_pk_mov_b32 v[22:23], v[24:25], v[24:25] op_sel:[0,1]
	s_andn2_b64 exec, exec, s[4:5]
	s_cbranch_execnz .LBB2_1540
	s_branch .LBB2_1459
.LBB2_1541:                             ;   in Loop: Header=BB2_1314 Depth=1
	s_branch .LBB2_1570
.LBB2_1542:                             ;   in Loop: Header=BB2_1314 Depth=1
                                        ; implicit-def: $vgpr18_vgpr19
	s_cbranch_execz .LBB2_1570
; %bb.1543:                             ;   in Loop: Header=BB2_1314 Depth=1
	v_readfirstlane_b32 s4, v43
	v_cmp_eq_u32_e64 s[4:5], s4, v43
	s_waitcnt vmcnt(0)
	v_pk_mov_b32 v[0:1], 0, 0
	s_and_saveexec_b64 s[16:17], s[4:5]
	s_cbranch_execz .LBB2_1549
; %bb.1544:                             ;   in Loop: Header=BB2_1314 Depth=1
	global_load_dwordx2 v[20:21], v3, s[34:35] offset:24 glc
	s_waitcnt vmcnt(0)
	buffer_invl2
	buffer_wbinvl1_vol
	global_load_dwordx2 v[0:1], v3, s[34:35] offset:40
	global_load_dwordx2 v[8:9], v3, s[34:35]
	s_waitcnt vmcnt(1)
	v_and_b32_e32 v0, v0, v20
	v_and_b32_e32 v1, v1, v21
	v_mul_lo_u32 v1, v1, 24
	v_mul_hi_u32 v2, v0, 24
	v_mul_lo_u32 v0, v0, 24
	v_add_u32_e32 v1, v2, v1
	s_waitcnt vmcnt(0)
	v_add_co_u32_e32 v0, vcc, v8, v0
	v_addc_co_u32_e32 v1, vcc, v9, v1, vcc
	global_load_dwordx2 v[18:19], v[0:1], off glc
	s_waitcnt vmcnt(0)
	global_atomic_cmpswap_x2 v[0:1], v3, v[18:21], s[34:35] offset:24 glc
	s_waitcnt vmcnt(0)
	buffer_invl2
	buffer_wbinvl1_vol
	v_cmp_ne_u64_e32 vcc, v[0:1], v[20:21]
	s_and_saveexec_b64 s[18:19], vcc
	s_cbranch_execz .LBB2_1548
; %bb.1545:                             ;   in Loop: Header=BB2_1314 Depth=1
	s_mov_b64 s[20:21], 0
.LBB2_1546:                             ;   Parent Loop BB2_1314 Depth=1
                                        ; =>  This Inner Loop Header: Depth=2
	s_sleep 1
	global_load_dwordx2 v[8:9], v3, s[34:35] offset:40
	global_load_dwordx2 v[18:19], v3, s[34:35]
	v_pk_mov_b32 v[20:21], v[0:1], v[0:1] op_sel:[0,1]
	s_waitcnt vmcnt(1)
	v_and_b32_e32 v0, v8, v20
	s_waitcnt vmcnt(0)
	v_mad_u64_u32 v[0:1], s[22:23], v0, 24, v[18:19]
	v_and_b32_e32 v9, v9, v21
	v_mov_b32_e32 v2, v1
	v_mad_u64_u32 v[8:9], s[22:23], v9, 24, v[2:3]
	v_mov_b32_e32 v1, v8
	global_load_dwordx2 v[18:19], v[0:1], off glc
	s_waitcnt vmcnt(0)
	global_atomic_cmpswap_x2 v[0:1], v3, v[18:21], s[34:35] offset:24 glc
	s_waitcnt vmcnt(0)
	buffer_invl2
	buffer_wbinvl1_vol
	v_cmp_eq_u64_e32 vcc, v[0:1], v[20:21]
	s_or_b64 s[20:21], vcc, s[20:21]
	s_andn2_b64 exec, exec, s[20:21]
	s_cbranch_execnz .LBB2_1546
; %bb.1547:                             ;   in Loop: Header=BB2_1314 Depth=1
	s_or_b64 exec, exec, s[20:21]
.LBB2_1548:                             ;   in Loop: Header=BB2_1314 Depth=1
	s_or_b64 exec, exec, s[18:19]
.LBB2_1549:                             ;   in Loop: Header=BB2_1314 Depth=1
	s_or_b64 exec, exec, s[16:17]
	global_load_dwordx2 v[8:9], v3, s[34:35] offset:40
	global_load_dwordx4 v[20:23], v3, s[34:35]
	v_readfirstlane_b32 s16, v0
	v_readfirstlane_b32 s17, v1
	s_mov_b64 s[18:19], exec
	s_waitcnt vmcnt(1)
	v_readfirstlane_b32 s20, v8
	v_readfirstlane_b32 s21, v9
	s_and_b64 s[20:21], s[16:17], s[20:21]
	s_mul_i32 s22, s21, 24
	s_mul_hi_u32 s23, s20, 24
	s_mul_i32 s24, s20, 24
	s_add_i32 s22, s23, s22
	v_mov_b32_e32 v1, s22
	s_waitcnt vmcnt(0)
	v_add_co_u32_e32 v0, vcc, s24, v20
	v_addc_co_u32_e32 v1, vcc, v21, v1, vcc
	s_and_saveexec_b64 s[22:23], s[4:5]
	s_cbranch_execz .LBB2_1551
; %bb.1550:                             ;   in Loop: Header=BB2_1314 Depth=1
	v_pk_mov_b32 v[8:9], s[18:19], s[18:19] op_sel:[0,1]
	global_store_dwordx4 v[0:1], v[8:11], off offset:8
.LBB2_1551:                             ;   in Loop: Header=BB2_1314 Depth=1
	s_or_b64 exec, exec, s[22:23]
	s_lshl_b64 s[18:19], s[20:21], 12
	v_mov_b32_e32 v2, s19
	v_add_co_u32_e32 v8, vcc, s18, v22
	v_addc_co_u32_e32 v9, vcc, v23, v2, vcc
	v_and_or_b32 v16, v16, s29, 32
	v_mov_b32_e32 v18, v3
	v_mov_b32_e32 v19, v3
	v_readfirstlane_b32 s18, v8
	v_readfirstlane_b32 s19, v9
	s_nop 4
	global_store_dwordx4 v42, v[16:19], s[18:19]
	s_nop 0
	v_pk_mov_b32 v[18:19], s[10:11], s[10:11] op_sel:[0,1]
	v_pk_mov_b32 v[16:17], s[8:9], s[8:9] op_sel:[0,1]
	global_store_dwordx4 v42, v[16:19], s[18:19] offset:16
	global_store_dwordx4 v42, v[16:19], s[18:19] offset:32
	;; [unrolled: 1-line block ×3, first 2 shown]
	s_and_saveexec_b64 s[18:19], s[4:5]
	s_cbranch_execz .LBB2_1559
; %bb.1552:                             ;   in Loop: Header=BB2_1314 Depth=1
	global_load_dwordx2 v[24:25], v3, s[34:35] offset:32 glc
	global_load_dwordx2 v[16:17], v3, s[34:35] offset:40
	v_mov_b32_e32 v22, s16
	v_mov_b32_e32 v23, s17
	s_waitcnt vmcnt(0)
	v_readfirstlane_b32 s20, v16
	v_readfirstlane_b32 s21, v17
	s_and_b64 s[20:21], s[20:21], s[16:17]
	s_mul_i32 s21, s21, 24
	s_mul_hi_u32 s22, s20, 24
	s_mul_i32 s20, s20, 24
	s_add_i32 s21, s22, s21
	v_mov_b32_e32 v2, s21
	v_add_co_u32_e32 v20, vcc, s20, v20
	v_addc_co_u32_e32 v21, vcc, v21, v2, vcc
	global_store_dwordx2 v[20:21], v[24:25], off
	buffer_wbl2
	s_waitcnt vmcnt(0)
	global_atomic_cmpswap_x2 v[18:19], v3, v[22:25], s[34:35] offset:32 glc
	s_waitcnt vmcnt(0)
	v_cmp_ne_u64_e32 vcc, v[18:19], v[24:25]
	s_and_saveexec_b64 s[20:21], vcc
	s_cbranch_execz .LBB2_1555
; %bb.1553:                             ;   in Loop: Header=BB2_1314 Depth=1
	s_mov_b64 s[22:23], 0
.LBB2_1554:                             ;   Parent Loop BB2_1314 Depth=1
                                        ; =>  This Inner Loop Header: Depth=2
	s_sleep 1
	global_store_dwordx2 v[20:21], v[18:19], off
	v_mov_b32_e32 v16, s16
	v_mov_b32_e32 v17, s17
	buffer_wbl2
	s_waitcnt vmcnt(0)
	global_atomic_cmpswap_x2 v[16:17], v3, v[16:19], s[34:35] offset:32 glc
	s_waitcnt vmcnt(0)
	v_cmp_eq_u64_e32 vcc, v[16:17], v[18:19]
	s_or_b64 s[22:23], vcc, s[22:23]
	v_pk_mov_b32 v[18:19], v[16:17], v[16:17] op_sel:[0,1]
	s_andn2_b64 exec, exec, s[22:23]
	s_cbranch_execnz .LBB2_1554
.LBB2_1555:                             ;   in Loop: Header=BB2_1314 Depth=1
	s_or_b64 exec, exec, s[20:21]
	global_load_dwordx2 v[16:17], v3, s[34:35] offset:16
	s_mov_b64 s[22:23], exec
	v_mbcnt_lo_u32_b32 v2, s22, 0
	v_mbcnt_hi_u32_b32 v2, s23, v2
	v_cmp_eq_u32_e32 vcc, 0, v2
	s_and_saveexec_b64 s[20:21], vcc
	s_cbranch_execz .LBB2_1557
; %bb.1556:                             ;   in Loop: Header=BB2_1314 Depth=1
	s_bcnt1_i32_b64 s22, s[22:23]
	v_mov_b32_e32 v2, s22
	buffer_wbl2
	s_waitcnt vmcnt(0)
	global_atomic_add_x2 v[16:17], v[2:3], off offset:8
.LBB2_1557:                             ;   in Loop: Header=BB2_1314 Depth=1
	s_or_b64 exec, exec, s[20:21]
	s_waitcnt vmcnt(0)
	global_load_dwordx2 v[18:19], v[16:17], off offset:16
	s_waitcnt vmcnt(0)
	v_cmp_eq_u64_e32 vcc, 0, v[18:19]
	s_cbranch_vccnz .LBB2_1559
; %bb.1558:                             ;   in Loop: Header=BB2_1314 Depth=1
	global_load_dword v2, v[16:17], off offset:24
	buffer_wbl2
	s_waitcnt vmcnt(0)
	global_store_dwordx2 v[18:19], v[2:3], off
	v_and_b32_e32 v2, 0xffffff, v2
	v_readfirstlane_b32 m0, v2
	s_sendmsg sendmsg(MSG_INTERRUPT)
.LBB2_1559:                             ;   in Loop: Header=BB2_1314 Depth=1
	s_or_b64 exec, exec, s[18:19]
	v_add_co_u32_e32 v8, vcc, v8, v42
	v_addc_co_u32_e32 v9, vcc, 0, v9, vcc
	s_branch .LBB2_1563
.LBB2_1560:                             ;   in Loop: Header=BB2_1563 Depth=2
	s_or_b64 exec, exec, s[18:19]
	v_readfirstlane_b32 s18, v2
	s_cmp_eq_u32 s18, 0
	s_cbranch_scc1 .LBB2_1562
; %bb.1561:                             ;   in Loop: Header=BB2_1563 Depth=2
	s_sleep 1
	s_cbranch_execnz .LBB2_1563
	s_branch .LBB2_1565
.LBB2_1562:                             ;   in Loop: Header=BB2_1314 Depth=1
	s_branch .LBB2_1565
.LBB2_1563:                             ;   Parent Loop BB2_1314 Depth=1
                                        ; =>  This Inner Loop Header: Depth=2
	v_mov_b32_e32 v2, 1
	s_and_saveexec_b64 s[18:19], s[4:5]
	s_cbranch_execz .LBB2_1560
; %bb.1564:                             ;   in Loop: Header=BB2_1563 Depth=2
	global_load_dword v2, v[0:1], off offset:20 glc
	s_waitcnt vmcnt(0)
	buffer_invl2
	buffer_wbinvl1_vol
	v_and_b32_e32 v2, 1, v2
	s_branch .LBB2_1560
.LBB2_1565:                             ;   in Loop: Header=BB2_1314 Depth=1
	global_load_dwordx2 v[18:19], v[8:9], off
	s_and_saveexec_b64 s[18:19], s[4:5]
	s_cbranch_execz .LBB2_1569
; %bb.1566:                             ;   in Loop: Header=BB2_1314 Depth=1
	global_load_dwordx2 v[0:1], v3, s[34:35] offset:40
	global_load_dwordx2 v[8:9], v3, s[34:35] offset:24 glc
	global_load_dwordx2 v[16:17], v3, s[34:35]
	v_mov_b32_e32 v2, s17
	s_waitcnt vmcnt(2)
	v_add_co_u32_e32 v23, vcc, 1, v0
	v_addc_co_u32_e32 v24, vcc, 0, v1, vcc
	v_add_co_u32_e32 v20, vcc, s16, v23
	v_addc_co_u32_e32 v21, vcc, v24, v2, vcc
	v_cmp_eq_u64_e32 vcc, 0, v[20:21]
	v_cndmask_b32_e32 v21, v21, v24, vcc
	v_cndmask_b32_e32 v20, v20, v23, vcc
	v_and_b32_e32 v1, v21, v1
	v_and_b32_e32 v0, v20, v0
	v_mul_lo_u32 v1, v1, 24
	v_mul_hi_u32 v2, v0, 24
	v_mul_lo_u32 v0, v0, 24
	v_add_u32_e32 v1, v2, v1
	s_waitcnt vmcnt(0)
	v_add_co_u32_e32 v0, vcc, v16, v0
	v_addc_co_u32_e32 v1, vcc, v17, v1, vcc
	v_mov_b32_e32 v22, v8
	global_store_dwordx2 v[0:1], v[8:9], off
	v_mov_b32_e32 v23, v9
	buffer_wbl2
	s_waitcnt vmcnt(0)
	global_atomic_cmpswap_x2 v[22:23], v3, v[20:23], s[34:35] offset:24 glc
	s_waitcnt vmcnt(0)
	v_cmp_ne_u64_e32 vcc, v[22:23], v[8:9]
	s_and_b64 exec, exec, vcc
	s_cbranch_execz .LBB2_1569
; %bb.1567:                             ;   in Loop: Header=BB2_1314 Depth=1
	s_mov_b64 s[4:5], 0
.LBB2_1568:                             ;   Parent Loop BB2_1314 Depth=1
                                        ; =>  This Inner Loop Header: Depth=2
	s_sleep 1
	global_store_dwordx2 v[0:1], v[22:23], off
	buffer_wbl2
	s_waitcnt vmcnt(0)
	global_atomic_cmpswap_x2 v[8:9], v3, v[20:23], s[34:35] offset:24 glc
	s_waitcnt vmcnt(0)
	v_cmp_eq_u64_e32 vcc, v[8:9], v[22:23]
	s_or_b64 s[4:5], vcc, s[4:5]
	v_pk_mov_b32 v[22:23], v[8:9], v[8:9] op_sel:[0,1]
	s_andn2_b64 exec, exec, s[4:5]
	s_cbranch_execnz .LBB2_1568
.LBB2_1569:                             ;   in Loop: Header=BB2_1314 Depth=1
	s_or_b64 exec, exec, s[18:19]
.LBB2_1570:                             ;   in Loop: Header=BB2_1314 Depth=1
	v_readfirstlane_b32 s4, v43
	v_cmp_eq_u32_e64 s[4:5], s4, v43
	s_waitcnt vmcnt(0)
	v_pk_mov_b32 v[0:1], 0, 0
	s_and_saveexec_b64 s[16:17], s[4:5]
	s_cbranch_execz .LBB2_1576
; %bb.1571:                             ;   in Loop: Header=BB2_1314 Depth=1
	global_load_dwordx2 v[22:23], v3, s[34:35] offset:24 glc
	s_waitcnt vmcnt(0)
	buffer_invl2
	buffer_wbinvl1_vol
	global_load_dwordx2 v[0:1], v3, s[34:35] offset:40
	global_load_dwordx2 v[8:9], v3, s[34:35]
	s_waitcnt vmcnt(1)
	v_and_b32_e32 v0, v0, v22
	v_and_b32_e32 v1, v1, v23
	v_mul_lo_u32 v1, v1, 24
	v_mul_hi_u32 v2, v0, 24
	v_mul_lo_u32 v0, v0, 24
	v_add_u32_e32 v1, v2, v1
	s_waitcnt vmcnt(0)
	v_add_co_u32_e32 v0, vcc, v8, v0
	v_addc_co_u32_e32 v1, vcc, v9, v1, vcc
	global_load_dwordx2 v[20:21], v[0:1], off glc
	s_waitcnt vmcnt(0)
	global_atomic_cmpswap_x2 v[0:1], v3, v[20:23], s[34:35] offset:24 glc
	s_waitcnt vmcnt(0)
	buffer_invl2
	buffer_wbinvl1_vol
	v_cmp_ne_u64_e32 vcc, v[0:1], v[22:23]
	s_and_saveexec_b64 s[18:19], vcc
	s_cbranch_execz .LBB2_1575
; %bb.1572:                             ;   in Loop: Header=BB2_1314 Depth=1
	s_mov_b64 s[20:21], 0
.LBB2_1573:                             ;   Parent Loop BB2_1314 Depth=1
                                        ; =>  This Inner Loop Header: Depth=2
	s_sleep 1
	global_load_dwordx2 v[8:9], v3, s[34:35] offset:40
	global_load_dwordx2 v[16:17], v3, s[34:35]
	v_pk_mov_b32 v[22:23], v[0:1], v[0:1] op_sel:[0,1]
	s_waitcnt vmcnt(1)
	v_and_b32_e32 v0, v8, v22
	s_waitcnt vmcnt(0)
	v_mad_u64_u32 v[0:1], s[22:23], v0, 24, v[16:17]
	v_and_b32_e32 v9, v9, v23
	v_mov_b32_e32 v2, v1
	v_mad_u64_u32 v[8:9], s[22:23], v9, 24, v[2:3]
	v_mov_b32_e32 v1, v8
	global_load_dwordx2 v[20:21], v[0:1], off glc
	s_waitcnt vmcnt(0)
	global_atomic_cmpswap_x2 v[0:1], v3, v[20:23], s[34:35] offset:24 glc
	s_waitcnt vmcnt(0)
	buffer_invl2
	buffer_wbinvl1_vol
	v_cmp_eq_u64_e32 vcc, v[0:1], v[22:23]
	s_or_b64 s[20:21], vcc, s[20:21]
	s_andn2_b64 exec, exec, s[20:21]
	s_cbranch_execnz .LBB2_1573
; %bb.1574:                             ;   in Loop: Header=BB2_1314 Depth=1
	s_or_b64 exec, exec, s[20:21]
.LBB2_1575:                             ;   in Loop: Header=BB2_1314 Depth=1
	s_or_b64 exec, exec, s[18:19]
.LBB2_1576:                             ;   in Loop: Header=BB2_1314 Depth=1
	s_or_b64 exec, exec, s[16:17]
	global_load_dwordx2 v[8:9], v3, s[34:35] offset:40
	global_load_dwordx4 v[22:25], v3, s[34:35]
	v_readfirstlane_b32 s16, v0
	v_readfirstlane_b32 s17, v1
	s_mov_b64 s[18:19], exec
	s_waitcnt vmcnt(1)
	v_readfirstlane_b32 s20, v8
	v_readfirstlane_b32 s21, v9
	s_and_b64 s[20:21], s[16:17], s[20:21]
	s_mul_i32 s22, s21, 24
	s_mul_hi_u32 s23, s20, 24
	s_mul_i32 s24, s20, 24
	s_add_i32 s22, s23, s22
	v_mov_b32_e32 v1, s22
	s_waitcnt vmcnt(0)
	v_add_co_u32_e32 v0, vcc, s24, v22
	v_addc_co_u32_e32 v1, vcc, v23, v1, vcc
	s_and_saveexec_b64 s[22:23], s[4:5]
	s_cbranch_execz .LBB2_1578
; %bb.1577:                             ;   in Loop: Header=BB2_1314 Depth=1
	v_pk_mov_b32 v[8:9], s[18:19], s[18:19] op_sel:[0,1]
	global_store_dwordx4 v[0:1], v[8:11], off offset:8
.LBB2_1578:                             ;   in Loop: Header=BB2_1314 Depth=1
	s_or_b64 exec, exec, s[22:23]
	s_lshl_b64 s[18:19], s[20:21], 12
	v_mov_b32_e32 v8, s19
	v_add_co_u32_e32 v2, vcc, s18, v24
	v_addc_co_u32_e32 v9, vcc, v25, v8, vcc
	s_ashr_i32 s18, s33, 1
	v_and_or_b32 v18, v18, s31, 34
	v_mov_b32_e32 v20, s18
	v_mov_b32_e32 v21, v3
	v_readfirstlane_b32 s18, v2
	v_readfirstlane_b32 s19, v9
	s_nop 4
	global_store_dwordx4 v42, v[18:21], s[18:19]
	s_nop 0
	v_pk_mov_b32 v[18:19], s[10:11], s[10:11] op_sel:[0,1]
	v_pk_mov_b32 v[16:17], s[8:9], s[8:9] op_sel:[0,1]
	global_store_dwordx4 v42, v[16:19], s[18:19] offset:16
	global_store_dwordx4 v42, v[16:19], s[18:19] offset:32
	;; [unrolled: 1-line block ×3, first 2 shown]
	s_and_saveexec_b64 s[18:19], s[4:5]
	s_cbranch_execz .LBB2_1586
; %bb.1579:                             ;   in Loop: Header=BB2_1314 Depth=1
	global_load_dwordx2 v[20:21], v3, s[34:35] offset:32 glc
	global_load_dwordx2 v[8:9], v3, s[34:35] offset:40
	v_mov_b32_e32 v18, s16
	v_mov_b32_e32 v19, s17
	s_waitcnt vmcnt(0)
	v_readfirstlane_b32 s20, v8
	v_readfirstlane_b32 s21, v9
	s_and_b64 s[20:21], s[20:21], s[16:17]
	s_mul_i32 s21, s21, 24
	s_mul_hi_u32 s22, s20, 24
	s_mul_i32 s20, s20, 24
	s_add_i32 s21, s22, s21
	v_mov_b32_e32 v2, s21
	v_add_co_u32_e32 v8, vcc, s20, v22
	v_addc_co_u32_e32 v9, vcc, v23, v2, vcc
	global_store_dwordx2 v[8:9], v[20:21], off
	buffer_wbl2
	s_waitcnt vmcnt(0)
	global_atomic_cmpswap_x2 v[18:19], v3, v[18:21], s[34:35] offset:32 glc
	s_waitcnt vmcnt(0)
	v_cmp_ne_u64_e32 vcc, v[18:19], v[20:21]
	s_and_saveexec_b64 s[20:21], vcc
	s_cbranch_execz .LBB2_1582
; %bb.1580:                             ;   in Loop: Header=BB2_1314 Depth=1
	s_mov_b64 s[22:23], 0
.LBB2_1581:                             ;   Parent Loop BB2_1314 Depth=1
                                        ; =>  This Inner Loop Header: Depth=2
	s_sleep 1
	global_store_dwordx2 v[8:9], v[18:19], off
	v_mov_b32_e32 v16, s16
	v_mov_b32_e32 v17, s17
	buffer_wbl2
	s_waitcnt vmcnt(0)
	global_atomic_cmpswap_x2 v[16:17], v3, v[16:19], s[34:35] offset:32 glc
	s_waitcnt vmcnt(0)
	v_cmp_eq_u64_e32 vcc, v[16:17], v[18:19]
	s_or_b64 s[22:23], vcc, s[22:23]
	v_pk_mov_b32 v[18:19], v[16:17], v[16:17] op_sel:[0,1]
	s_andn2_b64 exec, exec, s[22:23]
	s_cbranch_execnz .LBB2_1581
.LBB2_1582:                             ;   in Loop: Header=BB2_1314 Depth=1
	s_or_b64 exec, exec, s[20:21]
	global_load_dwordx2 v[8:9], v3, s[34:35] offset:16
	s_mov_b64 s[22:23], exec
	v_mbcnt_lo_u32_b32 v2, s22, 0
	v_mbcnt_hi_u32_b32 v2, s23, v2
	v_cmp_eq_u32_e32 vcc, 0, v2
	s_and_saveexec_b64 s[20:21], vcc
	s_cbranch_execz .LBB2_1584
; %bb.1583:                             ;   in Loop: Header=BB2_1314 Depth=1
	s_bcnt1_i32_b64 s22, s[22:23]
	v_mov_b32_e32 v2, s22
	buffer_wbl2
	s_waitcnt vmcnt(0)
	global_atomic_add_x2 v[8:9], v[2:3], off offset:8
.LBB2_1584:                             ;   in Loop: Header=BB2_1314 Depth=1
	s_or_b64 exec, exec, s[20:21]
	s_waitcnt vmcnt(0)
	global_load_dwordx2 v[16:17], v[8:9], off offset:16
	s_waitcnt vmcnt(0)
	v_cmp_eq_u64_e32 vcc, 0, v[16:17]
	s_cbranch_vccnz .LBB2_1586
; %bb.1585:                             ;   in Loop: Header=BB2_1314 Depth=1
	global_load_dword v2, v[8:9], off offset:24
	buffer_wbl2
	s_waitcnt vmcnt(0)
	global_store_dwordx2 v[16:17], v[2:3], off
	v_and_b32_e32 v2, 0xffffff, v2
	v_readfirstlane_b32 m0, v2
	s_sendmsg sendmsg(MSG_INTERRUPT)
.LBB2_1586:                             ;   in Loop: Header=BB2_1314 Depth=1
	s_or_b64 exec, exec, s[18:19]
	s_branch .LBB2_1590
.LBB2_1587:                             ;   in Loop: Header=BB2_1590 Depth=2
	s_or_b64 exec, exec, s[18:19]
	v_readfirstlane_b32 s18, v2
	s_cmp_eq_u32 s18, 0
	s_cbranch_scc1 .LBB2_1589
; %bb.1588:                             ;   in Loop: Header=BB2_1590 Depth=2
	s_sleep 1
	s_cbranch_execnz .LBB2_1590
	s_branch .LBB2_1592
.LBB2_1589:                             ;   in Loop: Header=BB2_1314 Depth=1
	s_branch .LBB2_1592
.LBB2_1590:                             ;   Parent Loop BB2_1314 Depth=1
                                        ; =>  This Inner Loop Header: Depth=2
	v_mov_b32_e32 v2, 1
	s_and_saveexec_b64 s[18:19], s[4:5]
	s_cbranch_execz .LBB2_1587
; %bb.1591:                             ;   in Loop: Header=BB2_1590 Depth=2
	global_load_dword v2, v[0:1], off offset:20 glc
	s_waitcnt vmcnt(0)
	buffer_invl2
	buffer_wbinvl1_vol
	v_and_b32_e32 v2, 1, v2
	s_branch .LBB2_1587
.LBB2_1592:                             ;   in Loop: Header=BB2_1314 Depth=1
	s_and_saveexec_b64 s[18:19], s[4:5]
	s_cbranch_execz .LBB2_1313
; %bb.1593:                             ;   in Loop: Header=BB2_1314 Depth=1
	global_load_dwordx2 v[0:1], v3, s[34:35] offset:40
	global_load_dwordx2 v[8:9], v3, s[34:35] offset:24 glc
	global_load_dwordx2 v[20:21], v3, s[34:35]
	v_mov_b32_e32 v2, s17
	s_waitcnt vmcnt(2)
	v_add_co_u32_e32 v19, vcc, 1, v0
	v_addc_co_u32_e32 v22, vcc, 0, v1, vcc
	v_add_co_u32_e32 v16, vcc, s16, v19
	v_addc_co_u32_e32 v17, vcc, v22, v2, vcc
	v_cmp_eq_u64_e32 vcc, 0, v[16:17]
	v_cndmask_b32_e32 v17, v17, v22, vcc
	v_cndmask_b32_e32 v16, v16, v19, vcc
	v_and_b32_e32 v1, v17, v1
	v_and_b32_e32 v0, v16, v0
	v_mul_lo_u32 v1, v1, 24
	v_mul_hi_u32 v2, v0, 24
	v_mul_lo_u32 v0, v0, 24
	v_add_u32_e32 v1, v2, v1
	s_waitcnt vmcnt(0)
	v_add_co_u32_e32 v0, vcc, v20, v0
	v_addc_co_u32_e32 v1, vcc, v21, v1, vcc
	v_mov_b32_e32 v18, v8
	global_store_dwordx2 v[0:1], v[8:9], off
	v_mov_b32_e32 v19, v9
	buffer_wbl2
	s_waitcnt vmcnt(0)
	global_atomic_cmpswap_x2 v[18:19], v3, v[16:19], s[34:35] offset:24 glc
	s_waitcnt vmcnt(0)
	v_cmp_ne_u64_e32 vcc, v[18:19], v[8:9]
	s_and_b64 exec, exec, vcc
	s_cbranch_execz .LBB2_1313
; %bb.1594:                             ;   in Loop: Header=BB2_1314 Depth=1
	s_mov_b64 s[4:5], 0
.LBB2_1595:                             ;   Parent Loop BB2_1314 Depth=1
                                        ; =>  This Inner Loop Header: Depth=2
	s_sleep 1
	global_store_dwordx2 v[0:1], v[18:19], off
	buffer_wbl2
	s_waitcnt vmcnt(0)
	global_atomic_cmpswap_x2 v[8:9], v3, v[16:19], s[34:35] offset:24 glc
	s_waitcnt vmcnt(0)
	v_cmp_eq_u64_e32 vcc, v[8:9], v[18:19]
	s_or_b64 s[4:5], vcc, s[4:5]
	v_pk_mov_b32 v[18:19], v[8:9], v[8:9] op_sel:[0,1]
	s_andn2_b64 exec, exec, s[4:5]
	s_cbranch_execnz .LBB2_1595
	s_branch .LBB2_1313
.LBB2_1596:
	v_readfirstlane_b32 s4, v43
	v_cmp_eq_u32_e64 s[4:5], s4, v43
	s_waitcnt vmcnt(0)
	v_pk_mov_b32 v[6:7], 0, 0
	s_and_saveexec_b64 s[6:7], s[4:5]
	s_cbranch_execz .LBB2_1602
; %bb.1597:
	v_mov_b32_e32 v0, 0
	global_load_dwordx2 v[4:5], v0, s[34:35] offset:24 glc
	s_waitcnt vmcnt(0)
	buffer_invl2
	buffer_wbinvl1_vol
	global_load_dwordx2 v[2:3], v0, s[34:35] offset:40
	global_load_dwordx2 v[6:7], v0, s[34:35]
	s_waitcnt vmcnt(1)
	v_and_b32_e32 v1, v2, v4
	v_and_b32_e32 v2, v3, v5
	v_mul_lo_u32 v2, v2, 24
	v_mul_hi_u32 v3, v1, 24
	v_mul_lo_u32 v1, v1, 24
	v_add_u32_e32 v3, v3, v2
	s_waitcnt vmcnt(0)
	v_add_co_u32_e32 v2, vcc, v6, v1
	v_addc_co_u32_e32 v3, vcc, v7, v3, vcc
	global_load_dwordx2 v[2:3], v[2:3], off glc
	s_waitcnt vmcnt(0)
	global_atomic_cmpswap_x2 v[6:7], v0, v[2:5], s[34:35] offset:24 glc
	s_waitcnt vmcnt(0)
	buffer_invl2
	buffer_wbinvl1_vol
	v_cmp_ne_u64_e32 vcc, v[6:7], v[4:5]
	s_and_saveexec_b64 s[8:9], vcc
	s_cbranch_execz .LBB2_1601
; %bb.1598:
	s_mov_b64 s[10:11], 0
.LBB2_1599:                             ; =>This Inner Loop Header: Depth=1
	s_sleep 1
	global_load_dwordx2 v[2:3], v0, s[34:35] offset:40
	global_load_dwordx2 v[8:9], v0, s[34:35]
	v_pk_mov_b32 v[4:5], v[6:7], v[6:7] op_sel:[0,1]
	s_waitcnt vmcnt(1)
	v_and_b32_e32 v2, v2, v4
	v_and_b32_e32 v1, v3, v5
	s_waitcnt vmcnt(0)
	v_mad_u64_u32 v[2:3], s[12:13], v2, 24, v[8:9]
	v_mov_b32_e32 v6, v3
	v_mad_u64_u32 v[6:7], s[12:13], v1, 24, v[6:7]
	v_mov_b32_e32 v3, v6
	global_load_dwordx2 v[2:3], v[2:3], off glc
	s_waitcnt vmcnt(0)
	global_atomic_cmpswap_x2 v[6:7], v0, v[2:5], s[34:35] offset:24 glc
	s_waitcnt vmcnt(0)
	buffer_invl2
	buffer_wbinvl1_vol
	v_cmp_eq_u64_e32 vcc, v[6:7], v[4:5]
	s_or_b64 s[10:11], vcc, s[10:11]
	s_andn2_b64 exec, exec, s[10:11]
	s_cbranch_execnz .LBB2_1599
; %bb.1600:
	s_or_b64 exec, exec, s[10:11]
.LBB2_1601:
	s_or_b64 exec, exec, s[8:9]
.LBB2_1602:
	s_or_b64 exec, exec, s[6:7]
	v_mov_b32_e32 v5, 0
	global_load_dwordx2 v[8:9], v5, s[34:35] offset:40
	global_load_dwordx4 v[0:3], v5, s[34:35]
	v_readfirstlane_b32 s6, v6
	v_readfirstlane_b32 s7, v7
	s_mov_b64 s[8:9], exec
	s_waitcnt vmcnt(1)
	v_readfirstlane_b32 s10, v8
	v_readfirstlane_b32 s11, v9
	s_and_b64 s[10:11], s[6:7], s[10:11]
	s_mul_i32 s12, s11, 24
	s_mul_hi_u32 s13, s10, 24
	s_mul_i32 s14, s10, 24
	s_add_i32 s12, s13, s12
	v_mov_b32_e32 v4, s12
	s_waitcnt vmcnt(0)
	v_add_co_u32_e32 v8, vcc, s14, v0
	v_addc_co_u32_e32 v9, vcc, v1, v4, vcc
	s_and_saveexec_b64 s[12:13], s[4:5]
	s_cbranch_execz .LBB2_1604
; %bb.1603:
	v_pk_mov_b32 v[10:11], s[8:9], s[8:9] op_sel:[0,1]
	v_mov_b32_e32 v12, 2
	v_mov_b32_e32 v13, 1
	global_store_dwordx4 v[8:9], v[10:13], off offset:8
.LBB2_1604:
	s_or_b64 exec, exec, s[12:13]
	s_lshl_b64 s[8:9], s[10:11], 12
	v_mov_b32_e32 v4, s9
	v_add_co_u32_e32 v2, vcc, s8, v2
	v_addc_co_u32_e32 v3, vcc, v3, v4, vcc
	s_mov_b32 s8, 0
	v_add_co_u32_e32 v10, vcc, v2, v42
	v_mov_b32_e32 v4, 33
	v_mov_b32_e32 v6, v5
	;; [unrolled: 1-line block ×3, first 2 shown]
	v_readfirstlane_b32 s12, v2
	v_readfirstlane_b32 s13, v3
	s_mov_b32 s9, s8
	v_addc_co_u32_e32 v11, vcc, 0, v3, vcc
	s_mov_b32 s10, s8
	s_mov_b32 s11, s8
	s_nop 0
	global_store_dwordx4 v42, v[4:7], s[12:13]
	v_pk_mov_b32 v[2:3], s[8:9], s[8:9] op_sel:[0,1]
	v_pk_mov_b32 v[4:5], s[10:11], s[10:11] op_sel:[0,1]
	global_store_dwordx4 v42, v[2:5], s[12:13] offset:16
	global_store_dwordx4 v42, v[2:5], s[12:13] offset:32
	;; [unrolled: 1-line block ×3, first 2 shown]
	s_and_saveexec_b64 s[8:9], s[4:5]
	s_cbranch_execz .LBB2_1612
; %bb.1605:
	v_mov_b32_e32 v6, 0
	global_load_dwordx2 v[14:15], v6, s[34:35] offset:32 glc
	global_load_dwordx2 v[2:3], v6, s[34:35] offset:40
	v_mov_b32_e32 v12, s6
	v_mov_b32_e32 v13, s7
	s_waitcnt vmcnt(0)
	v_readfirstlane_b32 s10, v2
	v_readfirstlane_b32 s11, v3
	s_and_b64 s[10:11], s[10:11], s[6:7]
	s_mul_i32 s11, s11, 24
	s_mul_hi_u32 s12, s10, 24
	s_mul_i32 s10, s10, 24
	s_add_i32 s11, s12, s11
	v_mov_b32_e32 v2, s11
	v_add_co_u32_e32 v4, vcc, s10, v0
	v_addc_co_u32_e32 v5, vcc, v1, v2, vcc
	global_store_dwordx2 v[4:5], v[14:15], off
	buffer_wbl2
	s_waitcnt vmcnt(0)
	global_atomic_cmpswap_x2 v[2:3], v6, v[12:15], s[34:35] offset:32 glc
	s_waitcnt vmcnt(0)
	v_cmp_ne_u64_e32 vcc, v[2:3], v[14:15]
	s_and_saveexec_b64 s[10:11], vcc
	s_cbranch_execz .LBB2_1608
; %bb.1606:
	s_mov_b64 s[12:13], 0
.LBB2_1607:                             ; =>This Inner Loop Header: Depth=1
	s_sleep 1
	global_store_dwordx2 v[4:5], v[2:3], off
	v_mov_b32_e32 v0, s6
	v_mov_b32_e32 v1, s7
	buffer_wbl2
	s_waitcnt vmcnt(0)
	global_atomic_cmpswap_x2 v[0:1], v6, v[0:3], s[34:35] offset:32 glc
	s_waitcnt vmcnt(0)
	v_cmp_eq_u64_e32 vcc, v[0:1], v[2:3]
	s_or_b64 s[12:13], vcc, s[12:13]
	v_pk_mov_b32 v[2:3], v[0:1], v[0:1] op_sel:[0,1]
	s_andn2_b64 exec, exec, s[12:13]
	s_cbranch_execnz .LBB2_1607
.LBB2_1608:
	s_or_b64 exec, exec, s[10:11]
	v_mov_b32_e32 v3, 0
	global_load_dwordx2 v[0:1], v3, s[34:35] offset:16
	s_mov_b64 s[10:11], exec
	v_mbcnt_lo_u32_b32 v2, s10, 0
	v_mbcnt_hi_u32_b32 v2, s11, v2
	v_cmp_eq_u32_e32 vcc, 0, v2
	s_and_saveexec_b64 s[12:13], vcc
	s_cbranch_execz .LBB2_1610
; %bb.1609:
	s_bcnt1_i32_b64 s10, s[10:11]
	v_mov_b32_e32 v2, s10
	buffer_wbl2
	s_waitcnt vmcnt(0)
	global_atomic_add_x2 v[0:1], v[2:3], off offset:8
.LBB2_1610:
	s_or_b64 exec, exec, s[12:13]
	s_waitcnt vmcnt(0)
	global_load_dwordx2 v[2:3], v[0:1], off offset:16
	s_waitcnt vmcnt(0)
	v_cmp_eq_u64_e32 vcc, 0, v[2:3]
	s_cbranch_vccnz .LBB2_1612
; %bb.1611:
	global_load_dword v0, v[0:1], off offset:24
	v_mov_b32_e32 v1, 0
	buffer_wbl2
	s_waitcnt vmcnt(0)
	global_store_dwordx2 v[2:3], v[0:1], off
	v_and_b32_e32 v0, 0xffffff, v0
	v_readfirstlane_b32 m0, v0
	s_sendmsg sendmsg(MSG_INTERRUPT)
.LBB2_1612:
	s_or_b64 exec, exec, s[8:9]
	s_branch .LBB2_1616
.LBB2_1613:                             ;   in Loop: Header=BB2_1616 Depth=1
	s_or_b64 exec, exec, s[8:9]
	v_readfirstlane_b32 s8, v0
	s_cmp_eq_u32 s8, 0
	s_cbranch_scc1 .LBB2_1615
; %bb.1614:                             ;   in Loop: Header=BB2_1616 Depth=1
	s_sleep 1
	s_cbranch_execnz .LBB2_1616
	s_branch .LBB2_1618
.LBB2_1615:
	s_branch .LBB2_1618
.LBB2_1616:                             ; =>This Inner Loop Header: Depth=1
	v_mov_b32_e32 v0, 1
	s_and_saveexec_b64 s[8:9], s[4:5]
	s_cbranch_execz .LBB2_1613
; %bb.1617:                             ;   in Loop: Header=BB2_1616 Depth=1
	global_load_dword v0, v[8:9], off offset:20 glc
	s_waitcnt vmcnt(0)
	buffer_invl2
	buffer_wbinvl1_vol
	v_and_b32_e32 v0, 1, v0
	s_branch .LBB2_1613
.LBB2_1618:
	global_load_dwordx2 v[0:1], v[10:11], off
	s_and_saveexec_b64 s[8:9], s[4:5]
	s_cbranch_execz .LBB2_1621
; %bb.1619:
	v_mov_b32_e32 v8, 0
	global_load_dwordx2 v[6:7], v8, s[34:35] offset:40
	global_load_dwordx2 v[10:11], v8, s[34:35] offset:24 glc
	global_load_dwordx2 v[12:13], v8, s[34:35]
	v_mov_b32_e32 v3, s7
	s_mov_b64 s[4:5], 0
	s_waitcnt vmcnt(2)
	v_add_co_u32_e32 v5, vcc, 1, v6
	v_addc_co_u32_e32 v9, vcc, 0, v7, vcc
	v_add_co_u32_e32 v2, vcc, s6, v5
	v_addc_co_u32_e32 v3, vcc, v9, v3, vcc
	v_cmp_eq_u64_e32 vcc, 0, v[2:3]
	v_cndmask_b32_e32 v3, v3, v9, vcc
	v_cndmask_b32_e32 v2, v2, v5, vcc
	v_and_b32_e32 v5, v3, v7
	v_and_b32_e32 v6, v2, v6
	v_mul_lo_u32 v5, v5, 24
	v_mul_hi_u32 v7, v6, 24
	v_mul_lo_u32 v6, v6, 24
	v_add_u32_e32 v5, v7, v5
	s_waitcnt vmcnt(0)
	v_add_co_u32_e32 v6, vcc, v12, v6
	v_addc_co_u32_e32 v7, vcc, v13, v5, vcc
	v_mov_b32_e32 v4, v10
	global_store_dwordx2 v[6:7], v[10:11], off
	v_mov_b32_e32 v5, v11
	buffer_wbl2
	s_waitcnt vmcnt(0)
	global_atomic_cmpswap_x2 v[4:5], v8, v[2:5], s[34:35] offset:24 glc
	s_waitcnt vmcnt(0)
	v_cmp_ne_u64_e32 vcc, v[4:5], v[10:11]
	s_and_b64 exec, exec, vcc
	s_cbranch_execz .LBB2_1621
.LBB2_1620:                             ; =>This Inner Loop Header: Depth=1
	s_sleep 1
	global_store_dwordx2 v[6:7], v[4:5], off
	buffer_wbl2
	s_waitcnt vmcnt(0)
	global_atomic_cmpswap_x2 v[10:11], v8, v[2:5], s[34:35] offset:24 glc
	s_waitcnt vmcnt(0)
	v_cmp_eq_u64_e32 vcc, v[10:11], v[4:5]
	s_or_b64 s[4:5], vcc, s[4:5]
	v_pk_mov_b32 v[4:5], v[10:11], v[10:11] op_sel:[0,1]
	s_andn2_b64 exec, exec, s[4:5]
	s_cbranch_execnz .LBB2_1620
.LBB2_1621:
	s_or_b64 exec, exec, s[8:9]
	s_getpc_b64 s[4:5]
	s_add_u32 s4, s4, .str.9@rel32@lo+4
	s_addc_u32 s5, s5, .str.9@rel32@hi+12
	s_cmp_lg_u64 s[4:5], 0
	s_cselect_b32 s10, 13, 0
	s_add_u32 s8, s26, 40
	s_addc_u32 s9, s27, 0
	v_mov_b32_e32 v2, s4
	v_mov_b32_e32 v3, s5
	;; [unrolled: 1-line block ×5, first 2 shown]
	s_getpc_b64 s[6:7]
	s_add_u32 s6, s6, __ockl_printf_append_string_n@rel32@lo+4
	s_addc_u32 s7, s7, __ockl_printf_append_string_n@rel32@hi+12
	s_swappc_b64 s[30:31], s[6:7]
	v_readfirstlane_b32 s4, v43
	v_cmp_eq_u32_e64 s[4:5], s4, v43
	v_pk_mov_b32 v[8:9], 0, 0
	s_and_saveexec_b64 s[6:7], s[4:5]
	s_cbranch_execz .LBB2_1627
; %bb.1622:
	v_mov_b32_e32 v2, 0
	global_load_dwordx2 v[6:7], v2, s[34:35] offset:24 glc
	s_waitcnt vmcnt(0)
	buffer_invl2
	buffer_wbinvl1_vol
	global_load_dwordx2 v[4:5], v2, s[34:35] offset:40
	global_load_dwordx2 v[8:9], v2, s[34:35]
	s_waitcnt vmcnt(1)
	v_and_b32_e32 v3, v4, v6
	v_and_b32_e32 v4, v5, v7
	v_mul_lo_u32 v4, v4, 24
	v_mul_hi_u32 v5, v3, 24
	v_mul_lo_u32 v3, v3, 24
	v_add_u32_e32 v5, v5, v4
	s_waitcnt vmcnt(0)
	v_add_co_u32_e32 v4, vcc, v8, v3
	v_addc_co_u32_e32 v5, vcc, v9, v5, vcc
	global_load_dwordx2 v[4:5], v[4:5], off glc
	s_waitcnt vmcnt(0)
	global_atomic_cmpswap_x2 v[8:9], v2, v[4:7], s[34:35] offset:24 glc
	s_waitcnt vmcnt(0)
	buffer_invl2
	buffer_wbinvl1_vol
	v_cmp_ne_u64_e32 vcc, v[8:9], v[6:7]
	s_and_saveexec_b64 s[8:9], vcc
	s_cbranch_execz .LBB2_1626
; %bb.1623:
	s_mov_b64 s[10:11], 0
.LBB2_1624:                             ; =>This Inner Loop Header: Depth=1
	s_sleep 1
	global_load_dwordx2 v[4:5], v2, s[34:35] offset:40
	global_load_dwordx2 v[10:11], v2, s[34:35]
	v_pk_mov_b32 v[6:7], v[8:9], v[8:9] op_sel:[0,1]
	s_waitcnt vmcnt(1)
	v_and_b32_e32 v4, v4, v6
	v_and_b32_e32 v3, v5, v7
	s_waitcnt vmcnt(0)
	v_mad_u64_u32 v[4:5], s[12:13], v4, 24, v[10:11]
	v_mov_b32_e32 v8, v5
	v_mad_u64_u32 v[8:9], s[12:13], v3, 24, v[8:9]
	v_mov_b32_e32 v5, v8
	global_load_dwordx2 v[4:5], v[4:5], off glc
	s_waitcnt vmcnt(0)
	global_atomic_cmpswap_x2 v[8:9], v2, v[4:7], s[34:35] offset:24 glc
	s_waitcnt vmcnt(0)
	buffer_invl2
	buffer_wbinvl1_vol
	v_cmp_eq_u64_e32 vcc, v[8:9], v[6:7]
	s_or_b64 s[10:11], vcc, s[10:11]
	s_andn2_b64 exec, exec, s[10:11]
	s_cbranch_execnz .LBB2_1624
; %bb.1625:
	s_or_b64 exec, exec, s[10:11]
.LBB2_1626:
	s_or_b64 exec, exec, s[8:9]
.LBB2_1627:
	s_or_b64 exec, exec, s[6:7]
	v_mov_b32_e32 v3, 0
	global_load_dwordx2 v[10:11], v3, s[34:35] offset:40
	global_load_dwordx4 v[4:7], v3, s[34:35]
	v_readfirstlane_b32 s6, v8
	v_readfirstlane_b32 s7, v9
	s_mov_b64 s[8:9], exec
	s_waitcnt vmcnt(1)
	v_readfirstlane_b32 s10, v10
	v_readfirstlane_b32 s11, v11
	s_and_b64 s[10:11], s[6:7], s[10:11]
	s_mul_i32 s12, s11, 24
	s_mul_hi_u32 s13, s10, 24
	s_mul_i32 s14, s10, 24
	s_add_i32 s12, s13, s12
	v_mov_b32_e32 v2, s12
	s_waitcnt vmcnt(0)
	v_add_co_u32_e32 v8, vcc, s14, v4
	v_addc_co_u32_e32 v9, vcc, v5, v2, vcc
	s_and_saveexec_b64 s[12:13], s[4:5]
	s_cbranch_execz .LBB2_1629
; %bb.1628:
	v_pk_mov_b32 v[10:11], s[8:9], s[8:9] op_sel:[0,1]
	v_mov_b32_e32 v12, 2
	v_mov_b32_e32 v13, 1
	global_store_dwordx4 v[8:9], v[10:13], off offset:8
.LBB2_1629:
	s_or_b64 exec, exec, s[12:13]
	s_lshl_b64 s[8:9], s[10:11], 12
	v_mov_b32_e32 v2, s9
	v_add_co_u32_e32 v6, vcc, s8, v6
	v_addc_co_u32_e32 v7, vcc, v7, v2, vcc
	s_mov_b32 s8, 0
	s_movk_i32 s9, 0xff1d
	v_and_or_b32 v0, v0, s9, 34
	v_mov_b32_e32 v2, s28
	v_readfirstlane_b32 s12, v6
	v_readfirstlane_b32 s13, v7
	s_mov_b32 s9, s8
	s_mov_b32 s10, s8
	;; [unrolled: 1-line block ×3, first 2 shown]
	s_nop 1
	global_store_dwordx4 v42, v[0:3], s[12:13]
	s_nop 0
	v_pk_mov_b32 v[0:1], s[8:9], s[8:9] op_sel:[0,1]
	v_pk_mov_b32 v[2:3], s[10:11], s[10:11] op_sel:[0,1]
	global_store_dwordx4 v42, v[0:3], s[12:13] offset:16
	global_store_dwordx4 v42, v[0:3], s[12:13] offset:32
	;; [unrolled: 1-line block ×3, first 2 shown]
	s_and_saveexec_b64 s[8:9], s[4:5]
	s_cbranch_execz .LBB2_1637
; %bb.1630:
	v_mov_b32_e32 v6, 0
	global_load_dwordx2 v[12:13], v6, s[34:35] offset:32 glc
	global_load_dwordx2 v[0:1], v6, s[34:35] offset:40
	v_mov_b32_e32 v10, s6
	v_mov_b32_e32 v11, s7
	s_waitcnt vmcnt(0)
	v_readfirstlane_b32 s10, v0
	v_readfirstlane_b32 s11, v1
	s_and_b64 s[10:11], s[10:11], s[6:7]
	s_mul_i32 s11, s11, 24
	s_mul_hi_u32 s12, s10, 24
	s_mul_i32 s10, s10, 24
	s_add_i32 s11, s12, s11
	v_mov_b32_e32 v0, s11
	v_add_co_u32_e32 v4, vcc, s10, v4
	v_addc_co_u32_e32 v5, vcc, v5, v0, vcc
	global_store_dwordx2 v[4:5], v[12:13], off
	buffer_wbl2
	s_waitcnt vmcnt(0)
	global_atomic_cmpswap_x2 v[2:3], v6, v[10:13], s[34:35] offset:32 glc
	s_waitcnt vmcnt(0)
	v_cmp_ne_u64_e32 vcc, v[2:3], v[12:13]
	s_and_saveexec_b64 s[10:11], vcc
	s_cbranch_execz .LBB2_1633
; %bb.1631:
	s_mov_b64 s[12:13], 0
.LBB2_1632:                             ; =>This Inner Loop Header: Depth=1
	s_sleep 1
	global_store_dwordx2 v[4:5], v[2:3], off
	v_mov_b32_e32 v0, s6
	v_mov_b32_e32 v1, s7
	buffer_wbl2
	s_waitcnt vmcnt(0)
	global_atomic_cmpswap_x2 v[0:1], v6, v[0:3], s[34:35] offset:32 glc
	s_waitcnt vmcnt(0)
	v_cmp_eq_u64_e32 vcc, v[0:1], v[2:3]
	s_or_b64 s[12:13], vcc, s[12:13]
	v_pk_mov_b32 v[2:3], v[0:1], v[0:1] op_sel:[0,1]
	s_andn2_b64 exec, exec, s[12:13]
	s_cbranch_execnz .LBB2_1632
.LBB2_1633:
	s_or_b64 exec, exec, s[10:11]
	v_mov_b32_e32 v3, 0
	global_load_dwordx2 v[0:1], v3, s[34:35] offset:16
	s_mov_b64 s[10:11], exec
	v_mbcnt_lo_u32_b32 v2, s10, 0
	v_mbcnt_hi_u32_b32 v2, s11, v2
	v_cmp_eq_u32_e32 vcc, 0, v2
	s_and_saveexec_b64 s[12:13], vcc
	s_cbranch_execz .LBB2_1635
; %bb.1634:
	s_bcnt1_i32_b64 s10, s[10:11]
	v_mov_b32_e32 v2, s10
	buffer_wbl2
	s_waitcnt vmcnt(0)
	global_atomic_add_x2 v[0:1], v[2:3], off offset:8
.LBB2_1635:
	s_or_b64 exec, exec, s[12:13]
	s_waitcnt vmcnt(0)
	global_load_dwordx2 v[2:3], v[0:1], off offset:16
	s_waitcnt vmcnt(0)
	v_cmp_eq_u64_e32 vcc, 0, v[2:3]
	s_cbranch_vccnz .LBB2_1637
; %bb.1636:
	global_load_dword v0, v[0:1], off offset:24
	v_mov_b32_e32 v1, 0
	buffer_wbl2
	s_waitcnt vmcnt(0)
	global_store_dwordx2 v[2:3], v[0:1], off
	v_and_b32_e32 v0, 0xffffff, v0
	v_readfirstlane_b32 m0, v0
	s_sendmsg sendmsg(MSG_INTERRUPT)
.LBB2_1637:
	s_or_b64 exec, exec, s[8:9]
	s_branch .LBB2_1641
.LBB2_1638:                             ;   in Loop: Header=BB2_1641 Depth=1
	s_or_b64 exec, exec, s[8:9]
	v_readfirstlane_b32 s8, v0
	s_cmp_eq_u32 s8, 0
	s_cbranch_scc1 .LBB2_1640
; %bb.1639:                             ;   in Loop: Header=BB2_1641 Depth=1
	s_sleep 1
	s_cbranch_execnz .LBB2_1641
	s_branch .LBB2_1643
.LBB2_1640:
	s_branch .LBB2_1643
.LBB2_1641:                             ; =>This Inner Loop Header: Depth=1
	v_mov_b32_e32 v0, 1
	s_and_saveexec_b64 s[8:9], s[4:5]
	s_cbranch_execz .LBB2_1638
; %bb.1642:                             ;   in Loop: Header=BB2_1641 Depth=1
	global_load_dword v0, v[8:9], off offset:20 glc
	s_waitcnt vmcnt(0)
	buffer_invl2
	buffer_wbinvl1_vol
	v_and_b32_e32 v0, 1, v0
	s_branch .LBB2_1638
.LBB2_1643:
	s_and_saveexec_b64 s[8:9], s[4:5]
	s_cbranch_execz .LBB2_1646
; %bb.1644:
	v_mov_b32_e32 v6, 0
	global_load_dwordx2 v[4:5], v6, s[34:35] offset:40
	global_load_dwordx2 v[8:9], v6, s[34:35] offset:24 glc
	global_load_dwordx2 v[10:11], v6, s[34:35]
	v_mov_b32_e32 v1, s7
	s_mov_b64 s[4:5], 0
	s_waitcnt vmcnt(2)
	v_add_co_u32_e32 v3, vcc, 1, v4
	v_addc_co_u32_e32 v7, vcc, 0, v5, vcc
	v_add_co_u32_e32 v0, vcc, s6, v3
	v_addc_co_u32_e32 v1, vcc, v7, v1, vcc
	v_cmp_eq_u64_e32 vcc, 0, v[0:1]
	v_cndmask_b32_e32 v1, v1, v7, vcc
	v_cndmask_b32_e32 v0, v0, v3, vcc
	v_and_b32_e32 v3, v1, v5
	v_and_b32_e32 v4, v0, v4
	v_mul_lo_u32 v3, v3, 24
	v_mul_hi_u32 v5, v4, 24
	v_mul_lo_u32 v4, v4, 24
	v_add_u32_e32 v3, v5, v3
	s_waitcnt vmcnt(0)
	v_add_co_u32_e32 v4, vcc, v10, v4
	v_addc_co_u32_e32 v5, vcc, v11, v3, vcc
	v_mov_b32_e32 v2, v8
	global_store_dwordx2 v[4:5], v[8:9], off
	v_mov_b32_e32 v3, v9
	buffer_wbl2
	s_waitcnt vmcnt(0)
	global_atomic_cmpswap_x2 v[2:3], v6, v[0:3], s[34:35] offset:24 glc
	s_waitcnt vmcnt(0)
	v_cmp_ne_u64_e32 vcc, v[2:3], v[8:9]
	s_and_b64 exec, exec, vcc
	s_cbranch_execz .LBB2_1646
.LBB2_1645:                             ; =>This Inner Loop Header: Depth=1
	s_sleep 1
	global_store_dwordx2 v[4:5], v[2:3], off
	buffer_wbl2
	s_waitcnt vmcnt(0)
	global_atomic_cmpswap_x2 v[8:9], v6, v[0:3], s[34:35] offset:24 glc
	s_waitcnt vmcnt(0)
	v_cmp_eq_u64_e32 vcc, v[8:9], v[2:3]
	s_or_b64 s[4:5], vcc, s[4:5]
	v_pk_mov_b32 v[2:3], v[8:9], v[8:9] op_sel:[0,1]
	s_andn2_b64 exec, exec, s[4:5]
	s_cbranch_execnz .LBB2_1645
.LBB2_1646:
	s_or_b64 exec, exec, s[8:9]
	v_readfirstlane_b32 s4, v43
	v_cmp_eq_u32_e64 s[4:5], s4, v43
	v_pk_mov_b32 v[6:7], 0, 0
	s_and_saveexec_b64 s[6:7], s[4:5]
	s_cbranch_execz .LBB2_1652
; %bb.1647:
	v_mov_b32_e32 v0, 0
	global_load_dwordx2 v[4:5], v0, s[34:35] offset:24 glc
	s_waitcnt vmcnt(0)
	buffer_invl2
	buffer_wbinvl1_vol
	global_load_dwordx2 v[2:3], v0, s[34:35] offset:40
	global_load_dwordx2 v[6:7], v0, s[34:35]
	s_waitcnt vmcnt(1)
	v_and_b32_e32 v1, v2, v4
	v_and_b32_e32 v2, v3, v5
	v_mul_lo_u32 v2, v2, 24
	v_mul_hi_u32 v3, v1, 24
	v_mul_lo_u32 v1, v1, 24
	v_add_u32_e32 v3, v3, v2
	s_waitcnt vmcnt(0)
	v_add_co_u32_e32 v2, vcc, v6, v1
	v_addc_co_u32_e32 v3, vcc, v7, v3, vcc
	global_load_dwordx2 v[2:3], v[2:3], off glc
	s_waitcnt vmcnt(0)
	global_atomic_cmpswap_x2 v[6:7], v0, v[2:5], s[34:35] offset:24 glc
	s_waitcnt vmcnt(0)
	buffer_invl2
	buffer_wbinvl1_vol
	v_cmp_ne_u64_e32 vcc, v[6:7], v[4:5]
	s_and_saveexec_b64 s[8:9], vcc
	s_cbranch_execz .LBB2_1651
; %bb.1648:
	s_mov_b64 s[10:11], 0
.LBB2_1649:                             ; =>This Inner Loop Header: Depth=1
	s_sleep 1
	global_load_dwordx2 v[2:3], v0, s[34:35] offset:40
	global_load_dwordx2 v[8:9], v0, s[34:35]
	v_pk_mov_b32 v[4:5], v[6:7], v[6:7] op_sel:[0,1]
	s_waitcnt vmcnt(1)
	v_and_b32_e32 v2, v2, v4
	v_and_b32_e32 v1, v3, v5
	s_waitcnt vmcnt(0)
	v_mad_u64_u32 v[2:3], s[12:13], v2, 24, v[8:9]
	v_mov_b32_e32 v6, v3
	v_mad_u64_u32 v[6:7], s[12:13], v1, 24, v[6:7]
	v_mov_b32_e32 v3, v6
	global_load_dwordx2 v[2:3], v[2:3], off glc
	s_waitcnt vmcnt(0)
	global_atomic_cmpswap_x2 v[6:7], v0, v[2:5], s[34:35] offset:24 glc
	s_waitcnt vmcnt(0)
	buffer_invl2
	buffer_wbinvl1_vol
	v_cmp_eq_u64_e32 vcc, v[6:7], v[4:5]
	s_or_b64 s[10:11], vcc, s[10:11]
	s_andn2_b64 exec, exec, s[10:11]
	s_cbranch_execnz .LBB2_1649
; %bb.1650:
	s_or_b64 exec, exec, s[10:11]
.LBB2_1651:
	s_or_b64 exec, exec, s[8:9]
.LBB2_1652:
	s_or_b64 exec, exec, s[6:7]
	v_mov_b32_e32 v5, 0
	global_load_dwordx2 v[8:9], v5, s[34:35] offset:40
	global_load_dwordx4 v[0:3], v5, s[34:35]
	v_readfirstlane_b32 s6, v6
	v_readfirstlane_b32 s7, v7
	s_mov_b64 s[8:9], exec
	s_waitcnt vmcnt(1)
	v_readfirstlane_b32 s10, v8
	v_readfirstlane_b32 s11, v9
	s_and_b64 s[10:11], s[6:7], s[10:11]
	s_mul_i32 s12, s11, 24
	s_mul_hi_u32 s13, s10, 24
	s_mul_i32 s14, s10, 24
	s_add_i32 s12, s13, s12
	v_mov_b32_e32 v4, s12
	s_waitcnt vmcnt(0)
	v_add_co_u32_e32 v8, vcc, s14, v0
	v_addc_co_u32_e32 v9, vcc, v1, v4, vcc
	s_and_saveexec_b64 s[12:13], s[4:5]
	s_cbranch_execz .LBB2_1654
; %bb.1653:
	v_pk_mov_b32 v[10:11], s[8:9], s[8:9] op_sel:[0,1]
	v_mov_b32_e32 v12, 2
	v_mov_b32_e32 v13, 1
	global_store_dwordx4 v[8:9], v[10:13], off offset:8
.LBB2_1654:
	s_or_b64 exec, exec, s[12:13]
	s_lshl_b64 s[8:9], s[10:11], 12
	v_mov_b32_e32 v4, s9
	v_add_co_u32_e32 v2, vcc, s8, v2
	v_addc_co_u32_e32 v3, vcc, v3, v4, vcc
	s_mov_b32 s8, 0
	v_add_co_u32_e32 v10, vcc, v2, v42
	v_mov_b32_e32 v4, 33
	v_mov_b32_e32 v6, v5
	;; [unrolled: 1-line block ×3, first 2 shown]
	v_readfirstlane_b32 s12, v2
	v_readfirstlane_b32 s13, v3
	s_mov_b32 s9, s8
	v_addc_co_u32_e32 v11, vcc, 0, v3, vcc
	s_mov_b32 s10, s8
	s_mov_b32 s11, s8
	s_nop 0
	global_store_dwordx4 v42, v[4:7], s[12:13]
	v_pk_mov_b32 v[2:3], s[8:9], s[8:9] op_sel:[0,1]
	v_pk_mov_b32 v[4:5], s[10:11], s[10:11] op_sel:[0,1]
	global_store_dwordx4 v42, v[2:5], s[12:13] offset:16
	global_store_dwordx4 v42, v[2:5], s[12:13] offset:32
	;; [unrolled: 1-line block ×3, first 2 shown]
	s_and_saveexec_b64 s[8:9], s[4:5]
	s_cbranch_execz .LBB2_1662
; %bb.1655:
	v_mov_b32_e32 v6, 0
	global_load_dwordx2 v[14:15], v6, s[34:35] offset:32 glc
	global_load_dwordx2 v[2:3], v6, s[34:35] offset:40
	v_mov_b32_e32 v12, s6
	v_mov_b32_e32 v13, s7
	s_waitcnt vmcnt(0)
	v_readfirstlane_b32 s10, v2
	v_readfirstlane_b32 s11, v3
	s_and_b64 s[10:11], s[10:11], s[6:7]
	s_mul_i32 s11, s11, 24
	s_mul_hi_u32 s12, s10, 24
	s_mul_i32 s10, s10, 24
	s_add_i32 s11, s12, s11
	v_mov_b32_e32 v2, s11
	v_add_co_u32_e32 v4, vcc, s10, v0
	v_addc_co_u32_e32 v5, vcc, v1, v2, vcc
	global_store_dwordx2 v[4:5], v[14:15], off
	buffer_wbl2
	s_waitcnt vmcnt(0)
	global_atomic_cmpswap_x2 v[2:3], v6, v[12:15], s[34:35] offset:32 glc
	s_waitcnt vmcnt(0)
	v_cmp_ne_u64_e32 vcc, v[2:3], v[14:15]
	s_and_saveexec_b64 s[10:11], vcc
	s_cbranch_execz .LBB2_1658
; %bb.1656:
	s_mov_b64 s[12:13], 0
.LBB2_1657:                             ; =>This Inner Loop Header: Depth=1
	s_sleep 1
	global_store_dwordx2 v[4:5], v[2:3], off
	v_mov_b32_e32 v0, s6
	v_mov_b32_e32 v1, s7
	buffer_wbl2
	s_waitcnt vmcnt(0)
	global_atomic_cmpswap_x2 v[0:1], v6, v[0:3], s[34:35] offset:32 glc
	s_waitcnt vmcnt(0)
	v_cmp_eq_u64_e32 vcc, v[0:1], v[2:3]
	s_or_b64 s[12:13], vcc, s[12:13]
	v_pk_mov_b32 v[2:3], v[0:1], v[0:1] op_sel:[0,1]
	s_andn2_b64 exec, exec, s[12:13]
	s_cbranch_execnz .LBB2_1657
.LBB2_1658:
	s_or_b64 exec, exec, s[10:11]
	v_mov_b32_e32 v3, 0
	global_load_dwordx2 v[0:1], v3, s[34:35] offset:16
	s_mov_b64 s[10:11], exec
	v_mbcnt_lo_u32_b32 v2, s10, 0
	v_mbcnt_hi_u32_b32 v2, s11, v2
	v_cmp_eq_u32_e32 vcc, 0, v2
	s_and_saveexec_b64 s[12:13], vcc
	s_cbranch_execz .LBB2_1660
; %bb.1659:
	s_bcnt1_i32_b64 s10, s[10:11]
	v_mov_b32_e32 v2, s10
	buffer_wbl2
	s_waitcnt vmcnt(0)
	global_atomic_add_x2 v[0:1], v[2:3], off offset:8
.LBB2_1660:
	s_or_b64 exec, exec, s[12:13]
	s_waitcnt vmcnt(0)
	global_load_dwordx2 v[2:3], v[0:1], off offset:16
	s_waitcnt vmcnt(0)
	v_cmp_eq_u64_e32 vcc, 0, v[2:3]
	s_cbranch_vccnz .LBB2_1662
; %bb.1661:
	global_load_dword v0, v[0:1], off offset:24
	v_mov_b32_e32 v1, 0
	buffer_wbl2
	s_waitcnt vmcnt(0)
	global_store_dwordx2 v[2:3], v[0:1], off
	v_and_b32_e32 v0, 0xffffff, v0
	v_readfirstlane_b32 m0, v0
	s_sendmsg sendmsg(MSG_INTERRUPT)
.LBB2_1662:
	s_or_b64 exec, exec, s[8:9]
	s_branch .LBB2_1666
.LBB2_1663:                             ;   in Loop: Header=BB2_1666 Depth=1
	s_or_b64 exec, exec, s[8:9]
	v_readfirstlane_b32 s8, v0
	s_cmp_eq_u32 s8, 0
	s_cbranch_scc1 .LBB2_1665
; %bb.1664:                             ;   in Loop: Header=BB2_1666 Depth=1
	s_sleep 1
	s_cbranch_execnz .LBB2_1666
	s_branch .LBB2_1668
.LBB2_1665:
	s_branch .LBB2_1668
.LBB2_1666:                             ; =>This Inner Loop Header: Depth=1
	v_mov_b32_e32 v0, 1
	s_and_saveexec_b64 s[8:9], s[4:5]
	s_cbranch_execz .LBB2_1663
; %bb.1667:                             ;   in Loop: Header=BB2_1666 Depth=1
	global_load_dword v0, v[8:9], off offset:20 glc
	s_waitcnt vmcnt(0)
	buffer_invl2
	buffer_wbinvl1_vol
	v_and_b32_e32 v0, 1, v0
	s_branch .LBB2_1663
.LBB2_1668:
	global_load_dwordx2 v[0:1], v[10:11], off
	s_and_saveexec_b64 s[8:9], s[4:5]
	s_cbranch_execz .LBB2_1671
; %bb.1669:
	v_mov_b32_e32 v8, 0
	global_load_dwordx2 v[6:7], v8, s[34:35] offset:40
	global_load_dwordx2 v[10:11], v8, s[34:35] offset:24 glc
	global_load_dwordx2 v[12:13], v8, s[34:35]
	v_mov_b32_e32 v3, s7
	s_mov_b64 s[4:5], 0
	s_waitcnt vmcnt(2)
	v_add_co_u32_e32 v5, vcc, 1, v6
	v_addc_co_u32_e32 v9, vcc, 0, v7, vcc
	v_add_co_u32_e32 v2, vcc, s6, v5
	v_addc_co_u32_e32 v3, vcc, v9, v3, vcc
	v_cmp_eq_u64_e32 vcc, 0, v[2:3]
	v_cndmask_b32_e32 v3, v3, v9, vcc
	v_cndmask_b32_e32 v2, v2, v5, vcc
	v_and_b32_e32 v5, v3, v7
	v_and_b32_e32 v6, v2, v6
	v_mul_lo_u32 v5, v5, 24
	v_mul_hi_u32 v7, v6, 24
	v_mul_lo_u32 v6, v6, 24
	v_add_u32_e32 v5, v7, v5
	s_waitcnt vmcnt(0)
	v_add_co_u32_e32 v6, vcc, v12, v6
	v_addc_co_u32_e32 v7, vcc, v13, v5, vcc
	v_mov_b32_e32 v4, v10
	global_store_dwordx2 v[6:7], v[10:11], off
	v_mov_b32_e32 v5, v11
	buffer_wbl2
	s_waitcnt vmcnt(0)
	global_atomic_cmpswap_x2 v[4:5], v8, v[2:5], s[34:35] offset:24 glc
	s_waitcnt vmcnt(0)
	v_cmp_ne_u64_e32 vcc, v[4:5], v[10:11]
	s_and_b64 exec, exec, vcc
	s_cbranch_execz .LBB2_1671
.LBB2_1670:                             ; =>This Inner Loop Header: Depth=1
	s_sleep 1
	global_store_dwordx2 v[6:7], v[4:5], off
	buffer_wbl2
	s_waitcnt vmcnt(0)
	global_atomic_cmpswap_x2 v[10:11], v8, v[2:5], s[34:35] offset:24 glc
	s_waitcnt vmcnt(0)
	v_cmp_eq_u64_e32 vcc, v[10:11], v[4:5]
	s_or_b64 s[4:5], vcc, s[4:5]
	v_pk_mov_b32 v[4:5], v[10:11], v[10:11] op_sel:[0,1]
	s_andn2_b64 exec, exec, s[4:5]
	s_cbranch_execnz .LBB2_1670
.LBB2_1671:
	s_or_b64 exec, exec, s[8:9]
	s_getpc_b64 s[4:5]
	s_add_u32 s4, s4, .str.10@rel32@lo+4
	s_addc_u32 s5, s5, .str.10@rel32@hi+12
	s_cmp_lg_u64 s[4:5], 0
	s_cselect_b32 s10, 19, 0
	s_add_u32 s8, s26, 40
	s_addc_u32 s9, s27, 0
	v_mov_b32_e32 v2, s4
	v_mov_b32_e32 v3, s5
	;; [unrolled: 1-line block ×5, first 2 shown]
	s_getpc_b64 s[6:7]
	s_add_u32 s6, s6, __ockl_printf_append_string_n@rel32@lo+4
	s_addc_u32 s7, s7, __ockl_printf_append_string_n@rel32@hi+12
	s_swappc_b64 s[30:31], s[6:7]
	s_endpgm
	.section	.rodata,"a",@progbits
	.p2align	6, 0x0
	.amdhsa_kernel _Z8printAIGPKiS0_S0_iii
		.amdhsa_group_segment_fixed_size 0
		.amdhsa_private_segment_fixed_size 0
		.amdhsa_kernarg_size 296
		.amdhsa_user_sgpr_count 8
		.amdhsa_user_sgpr_private_segment_buffer 1
		.amdhsa_user_sgpr_dispatch_ptr 0
		.amdhsa_user_sgpr_queue_ptr 0
		.amdhsa_user_sgpr_kernarg_segment_ptr 1
		.amdhsa_user_sgpr_dispatch_id 0
		.amdhsa_user_sgpr_flat_scratch_init 1
		.amdhsa_user_sgpr_kernarg_preload_length 0
		.amdhsa_user_sgpr_kernarg_preload_offset 0
		.amdhsa_user_sgpr_private_segment_size 0
		.amdhsa_uses_dynamic_stack 0
		.amdhsa_system_sgpr_private_segment_wavefront_offset 0
		.amdhsa_system_sgpr_workgroup_id_x 1
		.amdhsa_system_sgpr_workgroup_id_y 0
		.amdhsa_system_sgpr_workgroup_id_z 0
		.amdhsa_system_sgpr_workgroup_info 0
		.amdhsa_system_vgpr_workitem_id 0
		.amdhsa_next_free_vgpr 44
		.amdhsa_next_free_sgpr 50
		.amdhsa_accum_offset 44
		.amdhsa_reserve_vcc 1
		.amdhsa_reserve_flat_scratch 1
		.amdhsa_float_round_mode_32 0
		.amdhsa_float_round_mode_16_64 0
		.amdhsa_float_denorm_mode_32 3
		.amdhsa_float_denorm_mode_16_64 3
		.amdhsa_dx10_clamp 1
		.amdhsa_ieee_mode 1
		.amdhsa_fp16_overflow 0
		.amdhsa_tg_split 0
		.amdhsa_exception_fp_ieee_invalid_op 0
		.amdhsa_exception_fp_denorm_src 0
		.amdhsa_exception_fp_ieee_div_zero 0
		.amdhsa_exception_fp_ieee_overflow 0
		.amdhsa_exception_fp_ieee_underflow 0
		.amdhsa_exception_fp_ieee_inexact 0
		.amdhsa_exception_int_div_zero 0
	.end_amdhsa_kernel
	.text
.Lfunc_end2:
	.size	_Z8printAIGPKiS0_S0_iii, .Lfunc_end2-_Z8printAIGPKiS0_S0_iii
                                        ; -- End function
	.section	.AMDGPU.csdata,"",@progbits
; Kernel info:
; codeLenInByte = 59092
; NumSgprs: 56
; NumVgprs: 44
; NumAgprs: 0
; TotalNumVgprs: 44
; ScratchSize: 0
; MemoryBound: 0
; FloatMode: 240
; IeeeMode: 1
; LDSByteSize: 0 bytes/workgroup (compile time only)
; SGPRBlocks: 6
; VGPRBlocks: 5
; NumSGPRsForWavesPerEU: 56
; NumVGPRsForWavesPerEU: 44
; AccumOffset: 44
; Occupancy: 8
; WaveLimiterHint : 1
; COMPUTE_PGM_RSRC2:SCRATCH_EN: 0
; COMPUTE_PGM_RSRC2:USER_SGPR: 8
; COMPUTE_PGM_RSRC2:TRAP_HANDLER: 0
; COMPUTE_PGM_RSRC2:TGID_X_EN: 1
; COMPUTE_PGM_RSRC2:TGID_Y_EN: 0
; COMPUTE_PGM_RSRC2:TGID_Z_EN: 0
; COMPUTE_PGM_RSRC2:TIDIG_COMP_CNT: 0
; COMPUTE_PGM_RSRC3_GFX90A:ACCUM_OFFSET: 10
; COMPUTE_PGM_RSRC3_GFX90A:TG_SPLIT: 0
	.text
	.protected	_Z9printMffcPiS_S_PKiS1_iii ; -- Begin function _Z9printMffcPiS_S_PKiS1_iii
	.globl	_Z9printMffcPiS_S_PKiS1_iii
	.p2align	8
	.type	_Z9printMffcPiS_S_PKiS1_iii,@function
_Z9printMffcPiS_S_PKiS1_iii:            ; @_Z9printMffcPiS_S_PKiS1_iii
; %bb.0:
	s_load_dwordx2 s[6:7], s[4:5], 0x28
	s_waitcnt lgkmcnt(0)
	s_cmp_lt_i32 s6, 1
	s_cbranch_scc1 .LBB3_6
; %bb.1:
	s_load_dwordx4 s[0:3], s[4:5], 0x8
	s_cmp_eq_u32 s6, 1
	s_cselect_b64 s[8:9], -1, 0
	s_cmp_lg_u32 s6, 1
	s_cbranch_scc0 .LBB3_8
; %bb.2:
	s_add_i32 s8, s7, 1
	s_add_i32 s9, s7, s6
	s_cmp_ge_i32 s9, s8
	s_cbranch_scc0 .LBB3_7
; %bb.3:
	s_and_b32 s10, s6, 0x7ffffffe
	s_mov_b32 s11, 0
	s_mov_b32 s12, s10
	;; [unrolled: 1-line block ×5, first 2 shown]
.LBB3_4:                                ; =>This Inner Loop Header: Depth=1
	s_ashr_i32 s9, s8, 31
	s_lshl_b64 s[16:17], s[8:9], 2
	s_waitcnt lgkmcnt(0)
	s_add_u32 s18, s2, s16
	s_addc_u32 s19, s3, s17
	s_load_dwordx2 s[18:19], s[18:19], 0x0
	s_waitcnt lgkmcnt(0)
	s_cmp_lt_i32 s19, 2
	s_cselect_b64 s[20:21], -1, 0
	s_cmp_lt_i32 s18, 2
	s_cselect_b64 s[18:19], -1, 0
	s_add_u32 s16, s0, s16
	s_addc_u32 s17, s1, s17
	s_load_dwordx2 s[16:17], s[16:17], 0x0
	s_waitcnt lgkmcnt(0)
	s_cmp_lg_u32 s17, -1
	s_cselect_b64 s[22:23], -1, 0
	s_cmp_lg_u32 s16, -1
	s_cselect_b64 s[24:25], -1, 0
	s_and_b64 s[20:21], s[20:21], s[22:23]
	s_and_b64 s[18:19], s[18:19], s[24:25]
	s_cmp_lg_u64 s[20:21], 0
	s_addc_u32 s13, s13, 0
	s_cmp_lg_u64 s[18:19], 0
	s_addc_u32 s11, s11, 0
	s_cmp_eq_u32 s16, -1
	s_cselect_b64 s[18:19], -1, 0
	s_cmp_eq_u32 s17, -1
	s_cselect_b64 s[16:17], -1, 0
	s_cmp_lg_u64 s[16:17], 0
	s_addc_u32 s15, s15, 0
	s_cmp_lg_u64 s[18:19], 0
	s_addc_u32 s14, s14, 0
	s_add_i32 s8, s8, 2
	s_add_i32 s12, s12, -2
	s_cmp_lg_u32 s12, 0
	s_cbranch_scc1 .LBB3_4
; %bb.5:
	s_add_i32 s19, s11, s13
	s_add_i32 s18, s14, s15
	s_cmp_lg_u32 s10, s6
	s_cselect_b64 s[8:9], -1, 0
	s_and_b64 vcc, exec, s[8:9]
	s_cbranch_vccnz .LBB3_9
	s_branch .LBB3_11
.LBB3_6:
	s_mov_b32 s18, 0
	s_mov_b32 s19, 0
	s_branch .LBB3_11
.LBB3_7:
	s_mov_b64 s[8:9], -1
.LBB3_8:
	s_mov_b32 s18, 0
	s_mov_b32 s10, 0
	;; [unrolled: 1-line block ×3, first 2 shown]
	s_and_b64 vcc, exec, s[8:9]
	s_cbranch_vccz .LBB3_11
.LBB3_9:
	s_sub_i32 s8, s6, s10
	s_add_i32 s6, s10, s7
	s_add_i32 s6, s6, 1
.LBB3_10:                               ; =>This Inner Loop Header: Depth=1
	s_ashr_i32 s7, s6, 31
	s_lshl_b64 s[10:11], s[6:7], 2
	s_waitcnt lgkmcnt(0)
	s_add_u32 s12, s2, s10
	s_addc_u32 s13, s3, s11
	s_load_dword s7, s[12:13], 0x0
	s_waitcnt lgkmcnt(0)
	s_cmp_lt_i32 s7, 2
	s_cselect_b64 s[12:13], -1, 0
	s_add_u32 s10, s0, s10
	s_addc_u32 s11, s1, s11
	s_load_dword s7, s[10:11], 0x0
	s_waitcnt lgkmcnt(0)
	s_cmp_lg_u32 s7, -1
	s_cselect_b64 s[10:11], -1, 0
	s_and_b64 s[10:11], s[12:13], s[10:11]
	s_cmp_lg_u64 s[10:11], 0
	s_addc_u32 s19, s19, 0
	s_cmp_eq_u32 s7, -1
	s_cselect_b64 s[10:11], -1, 0
	s_cmp_lg_u64 s[10:11], 0
	s_addc_u32 s18, s18, 0
	s_add_i32 s8, s8, -1
	s_add_i32 s6, s6, 1
	s_cmp_eq_u32 s8, 0
	s_cbranch_scc0 .LBB3_10
.LBB3_11:
	s_waitcnt lgkmcnt(0)
	s_load_dwordx2 s[2:3], s[4:5], 0x88
	v_mbcnt_lo_u32_b32 v0, -1, 0
	v_mbcnt_hi_u32_b32 v34, -1, v0
	v_readfirstlane_b32 s0, v34
	v_cmp_eq_u32_e64 s[0:1], s0, v34
	v_pk_mov_b32 v[6:7], 0, 0
	s_and_saveexec_b64 s[4:5], s[0:1]
	s_cbranch_execz .LBB3_17
; %bb.12:
	v_mov_b32_e32 v0, 0
	s_waitcnt lgkmcnt(0)
	global_load_dwordx2 v[4:5], v0, s[2:3] offset:24 glc
	s_waitcnt vmcnt(0)
	buffer_invl2
	buffer_wbinvl1_vol
	global_load_dwordx2 v[2:3], v0, s[2:3] offset:40
	global_load_dwordx2 v[6:7], v0, s[2:3]
	s_waitcnt vmcnt(1)
	v_and_b32_e32 v1, v2, v4
	v_and_b32_e32 v2, v3, v5
	v_mul_lo_u32 v2, v2, 24
	v_mul_hi_u32 v3, v1, 24
	v_mul_lo_u32 v1, v1, 24
	v_add_u32_e32 v3, v3, v2
	s_waitcnt vmcnt(0)
	v_add_co_u32_e32 v2, vcc, v6, v1
	v_addc_co_u32_e32 v3, vcc, v7, v3, vcc
	global_load_dwordx2 v[2:3], v[2:3], off glc
	s_waitcnt vmcnt(0)
	global_atomic_cmpswap_x2 v[6:7], v0, v[2:5], s[2:3] offset:24 glc
	s_waitcnt vmcnt(0)
	buffer_invl2
	buffer_wbinvl1_vol
	v_cmp_ne_u64_e32 vcc, v[6:7], v[4:5]
	s_and_saveexec_b64 s[6:7], vcc
	s_cbranch_execz .LBB3_16
; %bb.13:
	s_mov_b64 s[8:9], 0
.LBB3_14:                               ; =>This Inner Loop Header: Depth=1
	s_sleep 1
	global_load_dwordx2 v[2:3], v0, s[2:3] offset:40
	global_load_dwordx2 v[8:9], v0, s[2:3]
	v_pk_mov_b32 v[4:5], v[6:7], v[6:7] op_sel:[0,1]
	s_waitcnt vmcnt(1)
	v_and_b32_e32 v2, v2, v4
	v_and_b32_e32 v1, v3, v5
	s_waitcnt vmcnt(0)
	v_mad_u64_u32 v[2:3], s[10:11], v2, 24, v[8:9]
	v_mov_b32_e32 v6, v3
	v_mad_u64_u32 v[6:7], s[10:11], v1, 24, v[6:7]
	v_mov_b32_e32 v3, v6
	global_load_dwordx2 v[2:3], v[2:3], off glc
	s_waitcnt vmcnt(0)
	global_atomic_cmpswap_x2 v[6:7], v0, v[2:5], s[2:3] offset:24 glc
	s_waitcnt vmcnt(0)
	buffer_invl2
	buffer_wbinvl1_vol
	v_cmp_eq_u64_e32 vcc, v[6:7], v[4:5]
	s_or_b64 s[8:9], vcc, s[8:9]
	s_andn2_b64 exec, exec, s[8:9]
	s_cbranch_execnz .LBB3_14
; %bb.15:
	s_or_b64 exec, exec, s[8:9]
.LBB3_16:
	s_or_b64 exec, exec, s[6:7]
.LBB3_17:
	s_or_b64 exec, exec, s[4:5]
	v_mov_b32_e32 v5, 0
	s_waitcnt lgkmcnt(0)
	global_load_dwordx2 v[8:9], v5, s[2:3] offset:40
	global_load_dwordx4 v[0:3], v5, s[2:3]
	v_readfirstlane_b32 s4, v6
	v_readfirstlane_b32 s5, v7
	s_mov_b64 s[6:7], exec
	s_waitcnt vmcnt(1)
	v_readfirstlane_b32 s8, v8
	v_readfirstlane_b32 s9, v9
	s_and_b64 s[8:9], s[4:5], s[8:9]
	s_mul_i32 s10, s9, 24
	s_mul_hi_u32 s11, s8, 24
	s_mul_i32 s12, s8, 24
	s_add_i32 s10, s11, s10
	v_mov_b32_e32 v4, s10
	s_waitcnt vmcnt(0)
	v_add_co_u32_e32 v8, vcc, s12, v0
	v_addc_co_u32_e32 v9, vcc, v1, v4, vcc
	s_and_saveexec_b64 s[10:11], s[0:1]
	s_cbranch_execz .LBB3_19
; %bb.18:
	v_pk_mov_b32 v[10:11], s[6:7], s[6:7] op_sel:[0,1]
	v_mov_b32_e32 v12, 2
	v_mov_b32_e32 v13, 1
	global_store_dwordx4 v[8:9], v[10:13], off offset:8
.LBB3_19:
	s_or_b64 exec, exec, s[10:11]
	s_lshl_b64 s[6:7], s[8:9], 12
	v_mov_b32_e32 v4, s7
	v_add_co_u32_e32 v2, vcc, s6, v2
	v_addc_co_u32_e32 v3, vcc, v3, v4, vcc
	s_mov_b32 s8, 0
	v_lshlrev_b32_e32 v29, 6, v34
	v_add_co_u32_e32 v10, vcc, v2, v29
	v_mov_b32_e32 v4, 33
	v_mov_b32_e32 v6, v5
	;; [unrolled: 1-line block ×3, first 2 shown]
	v_readfirstlane_b32 s6, v2
	v_readfirstlane_b32 s7, v3
	s_mov_b32 s9, s8
	v_addc_co_u32_e32 v11, vcc, 0, v3, vcc
	s_mov_b32 s10, s8
	s_mov_b32 s11, s8
	s_nop 0
	global_store_dwordx4 v29, v[4:7], s[6:7]
	v_pk_mov_b32 v[2:3], s[8:9], s[8:9] op_sel:[0,1]
	v_pk_mov_b32 v[4:5], s[10:11], s[10:11] op_sel:[0,1]
	global_store_dwordx4 v29, v[2:5], s[6:7] offset:16
	global_store_dwordx4 v29, v[2:5], s[6:7] offset:32
	;; [unrolled: 1-line block ×3, first 2 shown]
	s_and_saveexec_b64 s[6:7], s[0:1]
	s_cbranch_execz .LBB3_27
; %bb.20:
	v_mov_b32_e32 v6, 0
	global_load_dwordx2 v[14:15], v6, s[2:3] offset:32 glc
	global_load_dwordx2 v[2:3], v6, s[2:3] offset:40
	v_mov_b32_e32 v12, s4
	v_mov_b32_e32 v13, s5
	s_waitcnt vmcnt(0)
	v_and_b32_e32 v2, s4, v2
	v_and_b32_e32 v3, s5, v3
	v_mul_lo_u32 v3, v3, 24
	v_mul_hi_u32 v4, v2, 24
	v_mul_lo_u32 v2, v2, 24
	v_add_u32_e32 v3, v4, v3
	v_add_co_u32_e32 v4, vcc, v0, v2
	v_addc_co_u32_e32 v5, vcc, v1, v3, vcc
	global_store_dwordx2 v[4:5], v[14:15], off
	buffer_wbl2
	s_waitcnt vmcnt(0)
	global_atomic_cmpswap_x2 v[2:3], v6, v[12:15], s[2:3] offset:32 glc
	s_waitcnt vmcnt(0)
	v_cmp_ne_u64_e32 vcc, v[2:3], v[14:15]
	s_and_saveexec_b64 s[8:9], vcc
	s_cbranch_execz .LBB3_23
; %bb.21:
	s_mov_b64 s[10:11], 0
.LBB3_22:                               ; =>This Inner Loop Header: Depth=1
	s_sleep 1
	global_store_dwordx2 v[4:5], v[2:3], off
	v_mov_b32_e32 v0, s4
	v_mov_b32_e32 v1, s5
	buffer_wbl2
	s_waitcnt vmcnt(0)
	global_atomic_cmpswap_x2 v[0:1], v6, v[0:3], s[2:3] offset:32 glc
	s_waitcnt vmcnt(0)
	v_cmp_eq_u64_e32 vcc, v[0:1], v[2:3]
	s_or_b64 s[10:11], vcc, s[10:11]
	v_pk_mov_b32 v[2:3], v[0:1], v[0:1] op_sel:[0,1]
	s_andn2_b64 exec, exec, s[10:11]
	s_cbranch_execnz .LBB3_22
.LBB3_23:
	s_or_b64 exec, exec, s[8:9]
	v_mov_b32_e32 v3, 0
	global_load_dwordx2 v[0:1], v3, s[2:3] offset:16
	s_mov_b64 s[8:9], exec
	v_mbcnt_lo_u32_b32 v2, s8, 0
	v_mbcnt_hi_u32_b32 v2, s9, v2
	v_cmp_eq_u32_e32 vcc, 0, v2
	s_and_saveexec_b64 s[10:11], vcc
	s_cbranch_execz .LBB3_25
; %bb.24:
	s_bcnt1_i32_b64 s8, s[8:9]
	v_mov_b32_e32 v2, s8
	buffer_wbl2
	s_waitcnt vmcnt(0)
	global_atomic_add_x2 v[0:1], v[2:3], off offset:8
.LBB3_25:
	s_or_b64 exec, exec, s[10:11]
	s_waitcnt vmcnt(0)
	global_load_dwordx2 v[2:3], v[0:1], off offset:16
	s_waitcnt vmcnt(0)
	v_cmp_eq_u64_e32 vcc, 0, v[2:3]
	s_cbranch_vccnz .LBB3_27
; %bb.26:
	global_load_dword v0, v[0:1], off offset:24
	v_mov_b32_e32 v1, 0
	buffer_wbl2
	s_waitcnt vmcnt(0)
	global_store_dwordx2 v[2:3], v[0:1], off
	v_and_b32_e32 v0, 0xffffff, v0
	v_readfirstlane_b32 m0, v0
	s_sendmsg sendmsg(MSG_INTERRUPT)
.LBB3_27:
	s_or_b64 exec, exec, s[6:7]
	s_branch .LBB3_31
.LBB3_28:                               ;   in Loop: Header=BB3_31 Depth=1
	s_or_b64 exec, exec, s[6:7]
	v_readfirstlane_b32 s6, v0
	s_cmp_eq_u32 s6, 0
	s_cbranch_scc1 .LBB3_30
; %bb.29:                               ;   in Loop: Header=BB3_31 Depth=1
	s_sleep 1
	s_cbranch_execnz .LBB3_31
	s_branch .LBB3_33
.LBB3_30:
	s_branch .LBB3_33
.LBB3_31:                               ; =>This Inner Loop Header: Depth=1
	v_mov_b32_e32 v0, 1
	s_and_saveexec_b64 s[6:7], s[0:1]
	s_cbranch_execz .LBB3_28
; %bb.32:                               ;   in Loop: Header=BB3_31 Depth=1
	global_load_dword v0, v[8:9], off offset:20 glc
	s_waitcnt vmcnt(0)
	buffer_invl2
	buffer_wbinvl1_vol
	v_and_b32_e32 v0, 1, v0
	s_branch .LBB3_28
.LBB3_33:
	global_load_dwordx2 v[0:1], v[10:11], off
	s_and_saveexec_b64 s[6:7], s[0:1]
	s_cbranch_execz .LBB3_36
; %bb.34:
	v_mov_b32_e32 v8, 0
	global_load_dwordx2 v[6:7], v8, s[2:3] offset:40
	global_load_dwordx2 v[10:11], v8, s[2:3] offset:24 glc
	global_load_dwordx2 v[12:13], v8, s[2:3]
	v_mov_b32_e32 v3, s5
	s_mov_b64 s[0:1], 0
	s_waitcnt vmcnt(2)
	v_add_co_u32_e32 v5, vcc, 1, v6
	v_addc_co_u32_e32 v9, vcc, 0, v7, vcc
	v_add_co_u32_e32 v2, vcc, s4, v5
	v_addc_co_u32_e32 v3, vcc, v9, v3, vcc
	v_cmp_eq_u64_e32 vcc, 0, v[2:3]
	v_cndmask_b32_e32 v3, v3, v9, vcc
	v_cndmask_b32_e32 v2, v2, v5, vcc
	v_and_b32_e32 v5, v3, v7
	v_and_b32_e32 v6, v2, v6
	v_mul_lo_u32 v5, v5, 24
	v_mul_hi_u32 v7, v6, 24
	v_mul_lo_u32 v6, v6, 24
	v_add_u32_e32 v5, v7, v5
	s_waitcnt vmcnt(0)
	v_add_co_u32_e32 v6, vcc, v12, v6
	v_addc_co_u32_e32 v7, vcc, v13, v5, vcc
	v_mov_b32_e32 v4, v10
	global_store_dwordx2 v[6:7], v[10:11], off
	v_mov_b32_e32 v5, v11
	buffer_wbl2
	s_waitcnt vmcnt(0)
	global_atomic_cmpswap_x2 v[4:5], v8, v[2:5], s[2:3] offset:24 glc
	s_waitcnt vmcnt(0)
	v_cmp_ne_u64_e32 vcc, v[4:5], v[10:11]
	s_and_b64 exec, exec, vcc
	s_cbranch_execz .LBB3_36
.LBB3_35:                               ; =>This Inner Loop Header: Depth=1
	s_sleep 1
	global_store_dwordx2 v[6:7], v[4:5], off
	buffer_wbl2
	s_waitcnt vmcnt(0)
	global_atomic_cmpswap_x2 v[10:11], v8, v[2:5], s[2:3] offset:24 glc
	s_waitcnt vmcnt(0)
	v_cmp_eq_u64_e32 vcc, v[10:11], v[4:5]
	s_or_b64 s[0:1], vcc, s[0:1]
	v_pk_mov_b32 v[4:5], v[10:11], v[10:11] op_sel:[0,1]
	s_andn2_b64 exec, exec, s[0:1]
	s_cbranch_execnz .LBB3_35
.LBB3_36:
	s_or_b64 exec, exec, s[6:7]
	s_getpc_b64 s[4:5]
	s_add_u32 s4, s4, .str.11@rel32@lo+4
	s_addc_u32 s5, s5, .str.11@rel32@hi+12
	s_cmp_lg_u64 s[4:5], 0
	s_cbranch_scc0 .LBB3_121
; %bb.37:
	s_waitcnt vmcnt(0)
	v_and_b32_e32 v28, 2, v0
	v_mov_b32_e32 v31, 0
	v_and_b32_e32 v2, -3, v0
	v_mov_b32_e32 v3, v1
	s_mov_b64 s[6:7], 39
	v_mov_b32_e32 v6, 2
	v_mov_b32_e32 v7, 1
	s_branch .LBB3_39
.LBB3_38:                               ;   in Loop: Header=BB3_39 Depth=1
	s_or_b64 exec, exec, s[12:13]
	s_sub_u32 s6, s6, s8
	s_subb_u32 s7, s7, s9
	s_add_u32 s4, s4, s8
	s_addc_u32 s5, s5, s9
	s_cmp_lg_u64 s[6:7], 0
	s_cbranch_scc0 .LBB3_120
.LBB3_39:                               ; =>This Loop Header: Depth=1
                                        ;     Child Loop BB3_42 Depth 2
                                        ;     Child Loop BB3_49 Depth 2
	;; [unrolled: 1-line block ×11, first 2 shown]
	v_cmp_lt_u64_e64 s[0:1], s[6:7], 56
	s_and_b64 s[0:1], s[0:1], exec
	v_cmp_gt_u64_e64 s[0:1], s[6:7], 7
	s_cselect_b32 s9, s7, 0
	s_cselect_b32 s8, s6, 56
	s_and_b64 vcc, exec, s[0:1]
	s_cbranch_vccnz .LBB3_44
; %bb.40:                               ;   in Loop: Header=BB3_39 Depth=1
	s_mov_b64 s[0:1], 0
	s_cmp_eq_u64 s[6:7], 0
	v_pk_mov_b32 v[10:11], 0, 0
	s_cbranch_scc1 .LBB3_43
; %bb.41:                               ;   in Loop: Header=BB3_39 Depth=1
	s_lshl_b64 s[10:11], s[8:9], 3
	s_mov_b64 s[12:13], 0
	v_pk_mov_b32 v[10:11], 0, 0
	s_mov_b64 s[14:15], s[4:5]
.LBB3_42:                               ;   Parent Loop BB3_39 Depth=1
                                        ; =>  This Inner Loop Header: Depth=2
	global_load_ubyte v4, v31, s[14:15]
	s_waitcnt vmcnt(0)
	v_and_b32_e32 v30, 0xffff, v4
	v_lshlrev_b64 v[4:5], s12, v[30:31]
	s_add_u32 s12, s12, 8
	s_addc_u32 s13, s13, 0
	s_add_u32 s14, s14, 1
	s_addc_u32 s15, s15, 0
	v_or_b32_e32 v10, v4, v10
	s_cmp_lg_u32 s10, s12
	v_or_b32_e32 v11, v5, v11
	s_cbranch_scc1 .LBB3_42
.LBB3_43:                               ;   in Loop: Header=BB3_39 Depth=1
	s_mov_b32 s14, 0
	s_andn2_b64 vcc, exec, s[0:1]
	s_mov_b64 s[0:1], s[4:5]
	s_cbranch_vccz .LBB3_45
	s_branch .LBB3_46
.LBB3_44:                               ;   in Loop: Header=BB3_39 Depth=1
                                        ; implicit-def: $vgpr10_vgpr11
                                        ; implicit-def: $sgpr14
	s_mov_b64 s[0:1], s[4:5]
.LBB3_45:                               ;   in Loop: Header=BB3_39 Depth=1
	global_load_dwordx2 v[10:11], v31, s[4:5]
	s_add_i32 s14, s8, -8
	s_add_u32 s0, s4, 8
	s_addc_u32 s1, s5, 0
.LBB3_46:                               ;   in Loop: Header=BB3_39 Depth=1
	s_cmp_gt_u32 s14, 7
	s_cbranch_scc1 .LBB3_50
; %bb.47:                               ;   in Loop: Header=BB3_39 Depth=1
	s_cmp_eq_u32 s14, 0
	s_cbranch_scc1 .LBB3_51
; %bb.48:                               ;   in Loop: Header=BB3_39 Depth=1
	s_mov_b64 s[10:11], 0
	v_pk_mov_b32 v[12:13], 0, 0
	s_mov_b64 s[12:13], 0
.LBB3_49:                               ;   Parent Loop BB3_39 Depth=1
                                        ; =>  This Inner Loop Header: Depth=2
	s_add_u32 s16, s0, s12
	s_addc_u32 s17, s1, s13
	global_load_ubyte v4, v31, s[16:17]
	s_add_u32 s12, s12, 1
	s_addc_u32 s13, s13, 0
	s_waitcnt vmcnt(0)
	v_and_b32_e32 v30, 0xffff, v4
	v_lshlrev_b64 v[4:5], s10, v[30:31]
	s_add_u32 s10, s10, 8
	s_addc_u32 s11, s11, 0
	v_or_b32_e32 v12, v4, v12
	s_cmp_lg_u32 s14, s12
	v_or_b32_e32 v13, v5, v13
	s_cbranch_scc1 .LBB3_49
	s_branch .LBB3_52
.LBB3_50:                               ;   in Loop: Header=BB3_39 Depth=1
                                        ; implicit-def: $vgpr12_vgpr13
                                        ; implicit-def: $sgpr15
	s_branch .LBB3_53
.LBB3_51:                               ;   in Loop: Header=BB3_39 Depth=1
	v_pk_mov_b32 v[12:13], 0, 0
.LBB3_52:                               ;   in Loop: Header=BB3_39 Depth=1
	s_mov_b32 s15, 0
	s_cbranch_execnz .LBB3_54
.LBB3_53:                               ;   in Loop: Header=BB3_39 Depth=1
	global_load_dwordx2 v[12:13], v31, s[0:1]
	s_add_i32 s15, s14, -8
	s_add_u32 s0, s0, 8
	s_addc_u32 s1, s1, 0
.LBB3_54:                               ;   in Loop: Header=BB3_39 Depth=1
	s_cmp_gt_u32 s15, 7
	s_cbranch_scc1 .LBB3_58
; %bb.55:                               ;   in Loop: Header=BB3_39 Depth=1
	s_cmp_eq_u32 s15, 0
	s_cbranch_scc1 .LBB3_59
; %bb.56:                               ;   in Loop: Header=BB3_39 Depth=1
	s_mov_b64 s[10:11], 0
	v_pk_mov_b32 v[14:15], 0, 0
	s_mov_b64 s[12:13], 0
.LBB3_57:                               ;   Parent Loop BB3_39 Depth=1
                                        ; =>  This Inner Loop Header: Depth=2
	s_add_u32 s16, s0, s12
	s_addc_u32 s17, s1, s13
	global_load_ubyte v4, v31, s[16:17]
	s_add_u32 s12, s12, 1
	s_addc_u32 s13, s13, 0
	s_waitcnt vmcnt(0)
	v_and_b32_e32 v30, 0xffff, v4
	v_lshlrev_b64 v[4:5], s10, v[30:31]
	s_add_u32 s10, s10, 8
	s_addc_u32 s11, s11, 0
	v_or_b32_e32 v14, v4, v14
	s_cmp_lg_u32 s15, s12
	v_or_b32_e32 v15, v5, v15
	s_cbranch_scc1 .LBB3_57
	s_branch .LBB3_60
.LBB3_58:                               ;   in Loop: Header=BB3_39 Depth=1
                                        ; implicit-def: $sgpr14
	s_branch .LBB3_61
.LBB3_59:                               ;   in Loop: Header=BB3_39 Depth=1
	v_pk_mov_b32 v[14:15], 0, 0
.LBB3_60:                               ;   in Loop: Header=BB3_39 Depth=1
	s_mov_b32 s14, 0
	s_cbranch_execnz .LBB3_62
.LBB3_61:                               ;   in Loop: Header=BB3_39 Depth=1
	global_load_dwordx2 v[14:15], v31, s[0:1]
	s_add_i32 s14, s15, -8
	s_add_u32 s0, s0, 8
	s_addc_u32 s1, s1, 0
.LBB3_62:                               ;   in Loop: Header=BB3_39 Depth=1
	s_cmp_gt_u32 s14, 7
	s_cbranch_scc1 .LBB3_66
; %bb.63:                               ;   in Loop: Header=BB3_39 Depth=1
	s_cmp_eq_u32 s14, 0
	s_cbranch_scc1 .LBB3_67
; %bb.64:                               ;   in Loop: Header=BB3_39 Depth=1
	s_mov_b64 s[10:11], 0
	v_pk_mov_b32 v[16:17], 0, 0
	s_mov_b64 s[12:13], 0
.LBB3_65:                               ;   Parent Loop BB3_39 Depth=1
                                        ; =>  This Inner Loop Header: Depth=2
	s_add_u32 s16, s0, s12
	s_addc_u32 s17, s1, s13
	global_load_ubyte v4, v31, s[16:17]
	s_add_u32 s12, s12, 1
	s_addc_u32 s13, s13, 0
	s_waitcnt vmcnt(0)
	v_and_b32_e32 v30, 0xffff, v4
	v_lshlrev_b64 v[4:5], s10, v[30:31]
	s_add_u32 s10, s10, 8
	s_addc_u32 s11, s11, 0
	v_or_b32_e32 v16, v4, v16
	s_cmp_lg_u32 s14, s12
	v_or_b32_e32 v17, v5, v17
	s_cbranch_scc1 .LBB3_65
	s_branch .LBB3_68
.LBB3_66:                               ;   in Loop: Header=BB3_39 Depth=1
                                        ; implicit-def: $vgpr16_vgpr17
                                        ; implicit-def: $sgpr15
	s_branch .LBB3_69
.LBB3_67:                               ;   in Loop: Header=BB3_39 Depth=1
	v_pk_mov_b32 v[16:17], 0, 0
.LBB3_68:                               ;   in Loop: Header=BB3_39 Depth=1
	s_mov_b32 s15, 0
	s_cbranch_execnz .LBB3_70
.LBB3_69:                               ;   in Loop: Header=BB3_39 Depth=1
	global_load_dwordx2 v[16:17], v31, s[0:1]
	s_add_i32 s15, s14, -8
	s_add_u32 s0, s0, 8
	s_addc_u32 s1, s1, 0
.LBB3_70:                               ;   in Loop: Header=BB3_39 Depth=1
	s_cmp_gt_u32 s15, 7
	s_cbranch_scc1 .LBB3_74
; %bb.71:                               ;   in Loop: Header=BB3_39 Depth=1
	s_cmp_eq_u32 s15, 0
	s_cbranch_scc1 .LBB3_75
; %bb.72:                               ;   in Loop: Header=BB3_39 Depth=1
	s_mov_b64 s[10:11], 0
	v_pk_mov_b32 v[18:19], 0, 0
	s_mov_b64 s[12:13], 0
.LBB3_73:                               ;   Parent Loop BB3_39 Depth=1
                                        ; =>  This Inner Loop Header: Depth=2
	s_add_u32 s16, s0, s12
	s_addc_u32 s17, s1, s13
	global_load_ubyte v4, v31, s[16:17]
	s_add_u32 s12, s12, 1
	s_addc_u32 s13, s13, 0
	s_waitcnt vmcnt(0)
	v_and_b32_e32 v30, 0xffff, v4
	v_lshlrev_b64 v[4:5], s10, v[30:31]
	s_add_u32 s10, s10, 8
	s_addc_u32 s11, s11, 0
	v_or_b32_e32 v18, v4, v18
	s_cmp_lg_u32 s15, s12
	v_or_b32_e32 v19, v5, v19
	s_cbranch_scc1 .LBB3_73
	s_branch .LBB3_76
.LBB3_74:                               ;   in Loop: Header=BB3_39 Depth=1
                                        ; implicit-def: $sgpr14
	s_branch .LBB3_77
.LBB3_75:                               ;   in Loop: Header=BB3_39 Depth=1
	v_pk_mov_b32 v[18:19], 0, 0
.LBB3_76:                               ;   in Loop: Header=BB3_39 Depth=1
	s_mov_b32 s14, 0
	s_cbranch_execnz .LBB3_78
.LBB3_77:                               ;   in Loop: Header=BB3_39 Depth=1
	global_load_dwordx2 v[18:19], v31, s[0:1]
	s_add_i32 s14, s15, -8
	s_add_u32 s0, s0, 8
	s_addc_u32 s1, s1, 0
.LBB3_78:                               ;   in Loop: Header=BB3_39 Depth=1
	s_cmp_gt_u32 s14, 7
	s_cbranch_scc1 .LBB3_82
; %bb.79:                               ;   in Loop: Header=BB3_39 Depth=1
	s_cmp_eq_u32 s14, 0
	s_cbranch_scc1 .LBB3_83
; %bb.80:                               ;   in Loop: Header=BB3_39 Depth=1
	s_mov_b64 s[10:11], 0
	v_pk_mov_b32 v[20:21], 0, 0
	s_mov_b64 s[12:13], 0
.LBB3_81:                               ;   Parent Loop BB3_39 Depth=1
                                        ; =>  This Inner Loop Header: Depth=2
	s_add_u32 s16, s0, s12
	s_addc_u32 s17, s1, s13
	global_load_ubyte v4, v31, s[16:17]
	s_add_u32 s12, s12, 1
	s_addc_u32 s13, s13, 0
	s_waitcnt vmcnt(0)
	v_and_b32_e32 v30, 0xffff, v4
	v_lshlrev_b64 v[4:5], s10, v[30:31]
	s_add_u32 s10, s10, 8
	s_addc_u32 s11, s11, 0
	v_or_b32_e32 v20, v4, v20
	s_cmp_lg_u32 s14, s12
	v_or_b32_e32 v21, v5, v21
	s_cbranch_scc1 .LBB3_81
	s_branch .LBB3_84
.LBB3_82:                               ;   in Loop: Header=BB3_39 Depth=1
                                        ; implicit-def: $vgpr20_vgpr21
                                        ; implicit-def: $sgpr15
	s_branch .LBB3_85
.LBB3_83:                               ;   in Loop: Header=BB3_39 Depth=1
	v_pk_mov_b32 v[20:21], 0, 0
.LBB3_84:                               ;   in Loop: Header=BB3_39 Depth=1
	s_mov_b32 s15, 0
	s_cbranch_execnz .LBB3_86
.LBB3_85:                               ;   in Loop: Header=BB3_39 Depth=1
	global_load_dwordx2 v[20:21], v31, s[0:1]
	s_add_i32 s15, s14, -8
	s_add_u32 s0, s0, 8
	s_addc_u32 s1, s1, 0
.LBB3_86:                               ;   in Loop: Header=BB3_39 Depth=1
	s_cmp_gt_u32 s15, 7
	s_cbranch_scc1 .LBB3_90
; %bb.87:                               ;   in Loop: Header=BB3_39 Depth=1
	s_cmp_eq_u32 s15, 0
	s_cbranch_scc1 .LBB3_91
; %bb.88:                               ;   in Loop: Header=BB3_39 Depth=1
	s_mov_b64 s[10:11], 0
	v_pk_mov_b32 v[22:23], 0, 0
	s_mov_b64 s[12:13], s[0:1]
.LBB3_89:                               ;   Parent Loop BB3_39 Depth=1
                                        ; =>  This Inner Loop Header: Depth=2
	global_load_ubyte v4, v31, s[12:13]
	s_add_i32 s15, s15, -1
	s_waitcnt vmcnt(0)
	v_and_b32_e32 v30, 0xffff, v4
	v_lshlrev_b64 v[4:5], s10, v[30:31]
	s_add_u32 s10, s10, 8
	s_addc_u32 s11, s11, 0
	s_add_u32 s12, s12, 1
	s_addc_u32 s13, s13, 0
	v_or_b32_e32 v22, v4, v22
	s_cmp_lg_u32 s15, 0
	v_or_b32_e32 v23, v5, v23
	s_cbranch_scc1 .LBB3_89
	s_branch .LBB3_92
.LBB3_90:                               ;   in Loop: Header=BB3_39 Depth=1
	s_branch .LBB3_93
.LBB3_91:                               ;   in Loop: Header=BB3_39 Depth=1
	v_pk_mov_b32 v[22:23], 0, 0
.LBB3_92:                               ;   in Loop: Header=BB3_39 Depth=1
	s_cbranch_execnz .LBB3_94
.LBB3_93:                               ;   in Loop: Header=BB3_39 Depth=1
	global_load_dwordx2 v[22:23], v31, s[0:1]
.LBB3_94:                               ;   in Loop: Header=BB3_39 Depth=1
	v_readfirstlane_b32 s0, v34
	v_cmp_eq_u32_e64 s[0:1], s0, v34
	s_waitcnt vmcnt(0)
	v_pk_mov_b32 v[4:5], 0, 0
	s_and_saveexec_b64 s[10:11], s[0:1]
	s_cbranch_execz .LBB3_100
; %bb.95:                               ;   in Loop: Header=BB3_39 Depth=1
	global_load_dwordx2 v[26:27], v31, s[2:3] offset:24 glc
	s_waitcnt vmcnt(0)
	buffer_invl2
	buffer_wbinvl1_vol
	global_load_dwordx2 v[4:5], v31, s[2:3] offset:40
	global_load_dwordx2 v[8:9], v31, s[2:3]
	s_waitcnt vmcnt(1)
	v_and_b32_e32 v4, v4, v26
	v_and_b32_e32 v5, v5, v27
	v_mul_lo_u32 v5, v5, 24
	v_mul_hi_u32 v24, v4, 24
	v_mul_lo_u32 v4, v4, 24
	v_add_u32_e32 v5, v24, v5
	s_waitcnt vmcnt(0)
	v_add_co_u32_e32 v4, vcc, v8, v4
	v_addc_co_u32_e32 v5, vcc, v9, v5, vcc
	global_load_dwordx2 v[24:25], v[4:5], off glc
	s_waitcnt vmcnt(0)
	global_atomic_cmpswap_x2 v[4:5], v31, v[24:27], s[2:3] offset:24 glc
	s_waitcnt vmcnt(0)
	buffer_invl2
	buffer_wbinvl1_vol
	v_cmp_ne_u64_e32 vcc, v[4:5], v[26:27]
	s_and_saveexec_b64 s[12:13], vcc
	s_cbranch_execz .LBB3_99
; %bb.96:                               ;   in Loop: Header=BB3_39 Depth=1
	s_mov_b64 s[14:15], 0
.LBB3_97:                               ;   Parent Loop BB3_39 Depth=1
                                        ; =>  This Inner Loop Header: Depth=2
	s_sleep 1
	global_load_dwordx2 v[8:9], v31, s[2:3] offset:40
	global_load_dwordx2 v[24:25], v31, s[2:3]
	v_pk_mov_b32 v[26:27], v[4:5], v[4:5] op_sel:[0,1]
	s_waitcnt vmcnt(1)
	v_and_b32_e32 v4, v8, v26
	s_waitcnt vmcnt(0)
	v_mad_u64_u32 v[4:5], s[16:17], v4, 24, v[24:25]
	v_and_b32_e32 v9, v9, v27
	v_mov_b32_e32 v8, v5
	v_mad_u64_u32 v[8:9], s[16:17], v9, 24, v[8:9]
	v_mov_b32_e32 v5, v8
	global_load_dwordx2 v[24:25], v[4:5], off glc
	s_waitcnt vmcnt(0)
	global_atomic_cmpswap_x2 v[4:5], v31, v[24:27], s[2:3] offset:24 glc
	s_waitcnt vmcnt(0)
	buffer_invl2
	buffer_wbinvl1_vol
	v_cmp_eq_u64_e32 vcc, v[4:5], v[26:27]
	s_or_b64 s[14:15], vcc, s[14:15]
	s_andn2_b64 exec, exec, s[14:15]
	s_cbranch_execnz .LBB3_97
; %bb.98:                               ;   in Loop: Header=BB3_39 Depth=1
	s_or_b64 exec, exec, s[14:15]
.LBB3_99:                               ;   in Loop: Header=BB3_39 Depth=1
	s_or_b64 exec, exec, s[12:13]
.LBB3_100:                              ;   in Loop: Header=BB3_39 Depth=1
	s_or_b64 exec, exec, s[10:11]
	global_load_dwordx2 v[8:9], v31, s[2:3] offset:40
	global_load_dwordx4 v[24:27], v31, s[2:3]
	v_readfirstlane_b32 s10, v4
	v_readfirstlane_b32 s11, v5
	s_mov_b64 s[12:13], exec
	s_waitcnt vmcnt(1)
	v_readfirstlane_b32 s14, v8
	v_readfirstlane_b32 s15, v9
	s_and_b64 s[14:15], s[10:11], s[14:15]
	s_mul_i32 s16, s15, 24
	s_mul_hi_u32 s17, s14, 24
	s_mul_i32 s20, s14, 24
	s_add_i32 s16, s17, s16
	v_mov_b32_e32 v4, s16
	s_waitcnt vmcnt(0)
	v_add_co_u32_e32 v32, vcc, s20, v24
	v_addc_co_u32_e32 v33, vcc, v25, v4, vcc
	s_and_saveexec_b64 s[16:17], s[0:1]
	s_cbranch_execz .LBB3_102
; %bb.101:                              ;   in Loop: Header=BB3_39 Depth=1
	v_pk_mov_b32 v[4:5], s[12:13], s[12:13] op_sel:[0,1]
	global_store_dwordx4 v[32:33], v[4:7], off offset:8
.LBB3_102:                              ;   in Loop: Header=BB3_39 Depth=1
	s_or_b64 exec, exec, s[16:17]
	s_lshl_b64 s[12:13], s[14:15], 12
	v_mov_b32_e32 v4, s13
	v_add_co_u32_e32 v26, vcc, s12, v26
	v_addc_co_u32_e32 v27, vcc, v27, v4, vcc
	v_or_b32_e32 v5, v2, v28
	v_cmp_gt_u64_e64 vcc, s[6:7], 56
	s_lshl_b32 s12, s8, 2
	v_cndmask_b32_e32 v2, v5, v2, vcc
	s_add_i32 s12, s12, 28
	v_or_b32_e32 v4, 0, v3
	s_and_b32 s12, s12, 0x1e0
	v_and_b32_e32 v2, 0xffffff1f, v2
	v_cndmask_b32_e32 v9, v4, v3, vcc
	v_or_b32_e32 v8, s12, v2
	v_readfirstlane_b32 s12, v26
	v_readfirstlane_b32 s13, v27
	s_nop 4
	global_store_dwordx4 v29, v[8:11], s[12:13]
	global_store_dwordx4 v29, v[12:15], s[12:13] offset:16
	global_store_dwordx4 v29, v[16:19], s[12:13] offset:32
	;; [unrolled: 1-line block ×3, first 2 shown]
	s_and_saveexec_b64 s[12:13], s[0:1]
	s_cbranch_execz .LBB3_110
; %bb.103:                              ;   in Loop: Header=BB3_39 Depth=1
	global_load_dwordx2 v[12:13], v31, s[2:3] offset:32 glc
	global_load_dwordx2 v[2:3], v31, s[2:3] offset:40
	v_mov_b32_e32 v10, s10
	v_mov_b32_e32 v11, s11
	s_waitcnt vmcnt(0)
	v_readfirstlane_b32 s14, v2
	v_readfirstlane_b32 s15, v3
	s_and_b64 s[14:15], s[14:15], s[10:11]
	s_mul_i32 s15, s15, 24
	s_mul_hi_u32 s16, s14, 24
	s_mul_i32 s14, s14, 24
	s_add_i32 s15, s16, s15
	v_mov_b32_e32 v2, s15
	v_add_co_u32_e32 v8, vcc, s14, v24
	v_addc_co_u32_e32 v9, vcc, v25, v2, vcc
	global_store_dwordx2 v[8:9], v[12:13], off
	buffer_wbl2
	s_waitcnt vmcnt(0)
	global_atomic_cmpswap_x2 v[4:5], v31, v[10:13], s[2:3] offset:32 glc
	s_waitcnt vmcnt(0)
	v_cmp_ne_u64_e32 vcc, v[4:5], v[12:13]
	s_and_saveexec_b64 s[14:15], vcc
	s_cbranch_execz .LBB3_106
; %bb.104:                              ;   in Loop: Header=BB3_39 Depth=1
	s_mov_b64 s[16:17], 0
.LBB3_105:                              ;   Parent Loop BB3_39 Depth=1
                                        ; =>  This Inner Loop Header: Depth=2
	s_sleep 1
	global_store_dwordx2 v[8:9], v[4:5], off
	v_mov_b32_e32 v2, s10
	v_mov_b32_e32 v3, s11
	buffer_wbl2
	s_waitcnt vmcnt(0)
	global_atomic_cmpswap_x2 v[2:3], v31, v[2:5], s[2:3] offset:32 glc
	s_waitcnt vmcnt(0)
	v_cmp_eq_u64_e32 vcc, v[2:3], v[4:5]
	s_or_b64 s[16:17], vcc, s[16:17]
	v_pk_mov_b32 v[4:5], v[2:3], v[2:3] op_sel:[0,1]
	s_andn2_b64 exec, exec, s[16:17]
	s_cbranch_execnz .LBB3_105
.LBB3_106:                              ;   in Loop: Header=BB3_39 Depth=1
	s_or_b64 exec, exec, s[14:15]
	global_load_dwordx2 v[2:3], v31, s[2:3] offset:16
	s_mov_b64 s[16:17], exec
	v_mbcnt_lo_u32_b32 v4, s16, 0
	v_mbcnt_hi_u32_b32 v4, s17, v4
	v_cmp_eq_u32_e32 vcc, 0, v4
	s_and_saveexec_b64 s[14:15], vcc
	s_cbranch_execz .LBB3_108
; %bb.107:                              ;   in Loop: Header=BB3_39 Depth=1
	s_bcnt1_i32_b64 s16, s[16:17]
	v_mov_b32_e32 v30, s16
	buffer_wbl2
	s_waitcnt vmcnt(0)
	global_atomic_add_x2 v[2:3], v[30:31], off offset:8
.LBB3_108:                              ;   in Loop: Header=BB3_39 Depth=1
	s_or_b64 exec, exec, s[14:15]
	s_waitcnt vmcnt(0)
	global_load_dwordx2 v[4:5], v[2:3], off offset:16
	s_waitcnt vmcnt(0)
	v_cmp_eq_u64_e32 vcc, 0, v[4:5]
	s_cbranch_vccnz .LBB3_110
; %bb.109:                              ;   in Loop: Header=BB3_39 Depth=1
	global_load_dword v30, v[2:3], off offset:24
	s_waitcnt vmcnt(0)
	v_and_b32_e32 v2, 0xffffff, v30
	v_readfirstlane_b32 m0, v2
	buffer_wbl2
	global_store_dwordx2 v[4:5], v[30:31], off
	s_sendmsg sendmsg(MSG_INTERRUPT)
.LBB3_110:                              ;   in Loop: Header=BB3_39 Depth=1
	s_or_b64 exec, exec, s[12:13]
	v_add_co_u32_e32 v2, vcc, v26, v29
	v_addc_co_u32_e32 v3, vcc, 0, v27, vcc
	s_branch .LBB3_114
.LBB3_111:                              ;   in Loop: Header=BB3_114 Depth=2
	s_or_b64 exec, exec, s[12:13]
	v_readfirstlane_b32 s12, v4
	s_cmp_eq_u32 s12, 0
	s_cbranch_scc1 .LBB3_113
; %bb.112:                              ;   in Loop: Header=BB3_114 Depth=2
	s_sleep 1
	s_cbranch_execnz .LBB3_114
	s_branch .LBB3_116
.LBB3_113:                              ;   in Loop: Header=BB3_39 Depth=1
	s_branch .LBB3_116
.LBB3_114:                              ;   Parent Loop BB3_39 Depth=1
                                        ; =>  This Inner Loop Header: Depth=2
	v_mov_b32_e32 v4, 1
	s_and_saveexec_b64 s[12:13], s[0:1]
	s_cbranch_execz .LBB3_111
; %bb.115:                              ;   in Loop: Header=BB3_114 Depth=2
	global_load_dword v4, v[32:33], off offset:20 glc
	s_waitcnt vmcnt(0)
	buffer_invl2
	buffer_wbinvl1_vol
	v_and_b32_e32 v4, 1, v4
	s_branch .LBB3_111
.LBB3_116:                              ;   in Loop: Header=BB3_39 Depth=1
	global_load_dwordx4 v[2:5], v[2:3], off
	s_and_saveexec_b64 s[12:13], s[0:1]
	s_cbranch_execz .LBB3_38
; %bb.117:                              ;   in Loop: Header=BB3_39 Depth=1
	global_load_dwordx2 v[4:5], v31, s[2:3] offset:40
	global_load_dwordx2 v[12:13], v31, s[2:3] offset:24 glc
	global_load_dwordx2 v[14:15], v31, s[2:3]
	v_mov_b32_e32 v9, s11
	s_waitcnt vmcnt(2)
	v_add_co_u32_e32 v11, vcc, 1, v4
	v_addc_co_u32_e32 v16, vcc, 0, v5, vcc
	v_add_co_u32_e32 v8, vcc, s10, v11
	v_addc_co_u32_e32 v9, vcc, v16, v9, vcc
	v_cmp_eq_u64_e32 vcc, 0, v[8:9]
	v_cndmask_b32_e32 v9, v9, v16, vcc
	v_cndmask_b32_e32 v8, v8, v11, vcc
	v_and_b32_e32 v5, v9, v5
	v_and_b32_e32 v4, v8, v4
	v_mul_lo_u32 v5, v5, 24
	v_mul_hi_u32 v11, v4, 24
	v_mul_lo_u32 v4, v4, 24
	v_add_u32_e32 v5, v11, v5
	s_waitcnt vmcnt(0)
	v_add_co_u32_e32 v4, vcc, v14, v4
	v_addc_co_u32_e32 v5, vcc, v15, v5, vcc
	v_mov_b32_e32 v10, v12
	global_store_dwordx2 v[4:5], v[12:13], off
	v_mov_b32_e32 v11, v13
	buffer_wbl2
	s_waitcnt vmcnt(0)
	global_atomic_cmpswap_x2 v[10:11], v31, v[8:11], s[2:3] offset:24 glc
	s_waitcnt vmcnt(0)
	v_cmp_ne_u64_e32 vcc, v[10:11], v[12:13]
	s_and_b64 exec, exec, vcc
	s_cbranch_execz .LBB3_38
; %bb.118:                              ;   in Loop: Header=BB3_39 Depth=1
	s_mov_b64 s[0:1], 0
.LBB3_119:                              ;   Parent Loop BB3_39 Depth=1
                                        ; =>  This Inner Loop Header: Depth=2
	s_sleep 1
	global_store_dwordx2 v[4:5], v[10:11], off
	buffer_wbl2
	s_waitcnt vmcnt(0)
	global_atomic_cmpswap_x2 v[12:13], v31, v[8:11], s[2:3] offset:24 glc
	s_waitcnt vmcnt(0)
	v_cmp_eq_u64_e32 vcc, v[12:13], v[10:11]
	s_or_b64 s[0:1], vcc, s[0:1]
	v_pk_mov_b32 v[10:11], v[12:13], v[12:13] op_sel:[0,1]
	s_andn2_b64 exec, exec, s[0:1]
	s_cbranch_execnz .LBB3_119
	s_branch .LBB3_38
.LBB3_120:
	s_branch .LBB3_148
.LBB3_121:
                                        ; implicit-def: $vgpr2_vgpr3
	s_cbranch_execz .LBB3_148
; %bb.122:
	v_readfirstlane_b32 s0, v34
	v_cmp_eq_u32_e64 s[0:1], s0, v34
	v_pk_mov_b32 v[8:9], 0, 0
	s_and_saveexec_b64 s[4:5], s[0:1]
	s_cbranch_execz .LBB3_128
; %bb.123:
	s_waitcnt vmcnt(0)
	v_mov_b32_e32 v2, 0
	global_load_dwordx2 v[6:7], v2, s[2:3] offset:24 glc
	s_waitcnt vmcnt(0)
	buffer_invl2
	buffer_wbinvl1_vol
	global_load_dwordx2 v[4:5], v2, s[2:3] offset:40
	global_load_dwordx2 v[8:9], v2, s[2:3]
	s_waitcnt vmcnt(1)
	v_and_b32_e32 v3, v4, v6
	v_and_b32_e32 v4, v5, v7
	v_mul_lo_u32 v4, v4, 24
	v_mul_hi_u32 v5, v3, 24
	v_mul_lo_u32 v3, v3, 24
	v_add_u32_e32 v5, v5, v4
	s_waitcnt vmcnt(0)
	v_add_co_u32_e32 v4, vcc, v8, v3
	v_addc_co_u32_e32 v5, vcc, v9, v5, vcc
	global_load_dwordx2 v[4:5], v[4:5], off glc
	s_waitcnt vmcnt(0)
	global_atomic_cmpswap_x2 v[8:9], v2, v[4:7], s[2:3] offset:24 glc
	s_waitcnt vmcnt(0)
	buffer_invl2
	buffer_wbinvl1_vol
	v_cmp_ne_u64_e32 vcc, v[8:9], v[6:7]
	s_and_saveexec_b64 s[6:7], vcc
	s_cbranch_execz .LBB3_127
; %bb.124:
	s_mov_b64 s[8:9], 0
.LBB3_125:                              ; =>This Inner Loop Header: Depth=1
	s_sleep 1
	global_load_dwordx2 v[4:5], v2, s[2:3] offset:40
	global_load_dwordx2 v[10:11], v2, s[2:3]
	v_pk_mov_b32 v[6:7], v[8:9], v[8:9] op_sel:[0,1]
	s_waitcnt vmcnt(1)
	v_and_b32_e32 v4, v4, v6
	v_and_b32_e32 v3, v5, v7
	s_waitcnt vmcnt(0)
	v_mad_u64_u32 v[4:5], s[10:11], v4, 24, v[10:11]
	v_mov_b32_e32 v8, v5
	v_mad_u64_u32 v[8:9], s[10:11], v3, 24, v[8:9]
	v_mov_b32_e32 v5, v8
	global_load_dwordx2 v[4:5], v[4:5], off glc
	s_waitcnt vmcnt(0)
	global_atomic_cmpswap_x2 v[8:9], v2, v[4:7], s[2:3] offset:24 glc
	s_waitcnt vmcnt(0)
	buffer_invl2
	buffer_wbinvl1_vol
	v_cmp_eq_u64_e32 vcc, v[8:9], v[6:7]
	s_or_b64 s[8:9], vcc, s[8:9]
	s_andn2_b64 exec, exec, s[8:9]
	s_cbranch_execnz .LBB3_125
; %bb.126:
	s_or_b64 exec, exec, s[8:9]
.LBB3_127:
	s_or_b64 exec, exec, s[6:7]
.LBB3_128:
	s_or_b64 exec, exec, s[4:5]
	s_waitcnt vmcnt(0)
	v_mov_b32_e32 v2, 0
	global_load_dwordx2 v[10:11], v2, s[2:3] offset:40
	global_load_dwordx4 v[4:7], v2, s[2:3]
	v_readfirstlane_b32 s4, v8
	v_readfirstlane_b32 s5, v9
	s_mov_b64 s[6:7], exec
	s_waitcnt vmcnt(1)
	v_readfirstlane_b32 s8, v10
	v_readfirstlane_b32 s9, v11
	s_and_b64 s[8:9], s[4:5], s[8:9]
	s_mul_i32 s10, s9, 24
	s_mul_hi_u32 s11, s8, 24
	s_mul_i32 s12, s8, 24
	s_add_i32 s10, s11, s10
	v_mov_b32_e32 v3, s10
	s_waitcnt vmcnt(0)
	v_add_co_u32_e32 v8, vcc, s12, v4
	v_addc_co_u32_e32 v9, vcc, v5, v3, vcc
	s_and_saveexec_b64 s[10:11], s[0:1]
	s_cbranch_execz .LBB3_130
; %bb.129:
	v_pk_mov_b32 v[10:11], s[6:7], s[6:7] op_sel:[0,1]
	v_mov_b32_e32 v12, 2
	v_mov_b32_e32 v13, 1
	global_store_dwordx4 v[8:9], v[10:13], off offset:8
.LBB3_130:
	s_or_b64 exec, exec, s[10:11]
	s_lshl_b64 s[6:7], s[8:9], 12
	v_mov_b32_e32 v3, s7
	v_add_co_u32_e32 v10, vcc, s6, v6
	v_addc_co_u32_e32 v11, vcc, v7, v3, vcc
	s_movk_i32 s6, 0xff1f
	s_mov_b32 s8, 0
	v_and_or_b32 v0, v0, s6, 32
	v_mov_b32_e32 v3, v2
	v_readfirstlane_b32 s6, v10
	v_readfirstlane_b32 s7, v11
	s_mov_b32 s9, s8
	v_add_co_u32_e32 v6, vcc, v10, v29
	s_mov_b32 s10, s8
	s_mov_b32 s11, s8
	s_nop 0
	global_store_dwordx4 v29, v[0:3], s[6:7]
	v_addc_co_u32_e32 v7, vcc, 0, v11, vcc
	v_pk_mov_b32 v[0:1], s[8:9], s[8:9] op_sel:[0,1]
	v_pk_mov_b32 v[2:3], s[10:11], s[10:11] op_sel:[0,1]
	global_store_dwordx4 v29, v[0:3], s[6:7] offset:16
	global_store_dwordx4 v29, v[0:3], s[6:7] offset:32
	;; [unrolled: 1-line block ×3, first 2 shown]
	s_and_saveexec_b64 s[6:7], s[0:1]
	s_cbranch_execz .LBB3_138
; %bb.131:
	v_mov_b32_e32 v10, 0
	global_load_dwordx2 v[14:15], v10, s[2:3] offset:32 glc
	global_load_dwordx2 v[0:1], v10, s[2:3] offset:40
	v_mov_b32_e32 v12, s4
	v_mov_b32_e32 v13, s5
	s_waitcnt vmcnt(0)
	v_readfirstlane_b32 s8, v0
	v_readfirstlane_b32 s9, v1
	s_and_b64 s[8:9], s[8:9], s[4:5]
	s_mul_i32 s9, s9, 24
	s_mul_hi_u32 s10, s8, 24
	s_mul_i32 s8, s8, 24
	s_add_i32 s9, s10, s9
	v_mov_b32_e32 v0, s9
	v_add_co_u32_e32 v4, vcc, s8, v4
	v_addc_co_u32_e32 v5, vcc, v5, v0, vcc
	global_store_dwordx2 v[4:5], v[14:15], off
	buffer_wbl2
	s_waitcnt vmcnt(0)
	global_atomic_cmpswap_x2 v[2:3], v10, v[12:15], s[2:3] offset:32 glc
	s_waitcnt vmcnt(0)
	v_cmp_ne_u64_e32 vcc, v[2:3], v[14:15]
	s_and_saveexec_b64 s[8:9], vcc
	s_cbranch_execz .LBB3_134
; %bb.132:
	s_mov_b64 s[10:11], 0
.LBB3_133:                              ; =>This Inner Loop Header: Depth=1
	s_sleep 1
	global_store_dwordx2 v[4:5], v[2:3], off
	v_mov_b32_e32 v0, s4
	v_mov_b32_e32 v1, s5
	buffer_wbl2
	s_waitcnt vmcnt(0)
	global_atomic_cmpswap_x2 v[0:1], v10, v[0:3], s[2:3] offset:32 glc
	s_waitcnt vmcnt(0)
	v_cmp_eq_u64_e32 vcc, v[0:1], v[2:3]
	s_or_b64 s[10:11], vcc, s[10:11]
	v_pk_mov_b32 v[2:3], v[0:1], v[0:1] op_sel:[0,1]
	s_andn2_b64 exec, exec, s[10:11]
	s_cbranch_execnz .LBB3_133
.LBB3_134:
	s_or_b64 exec, exec, s[8:9]
	v_mov_b32_e32 v3, 0
	global_load_dwordx2 v[0:1], v3, s[2:3] offset:16
	s_mov_b64 s[8:9], exec
	v_mbcnt_lo_u32_b32 v2, s8, 0
	v_mbcnt_hi_u32_b32 v2, s9, v2
	v_cmp_eq_u32_e32 vcc, 0, v2
	s_and_saveexec_b64 s[10:11], vcc
	s_cbranch_execz .LBB3_136
; %bb.135:
	s_bcnt1_i32_b64 s8, s[8:9]
	v_mov_b32_e32 v2, s8
	buffer_wbl2
	s_waitcnt vmcnt(0)
	global_atomic_add_x2 v[0:1], v[2:3], off offset:8
.LBB3_136:
	s_or_b64 exec, exec, s[10:11]
	s_waitcnt vmcnt(0)
	global_load_dwordx2 v[2:3], v[0:1], off offset:16
	s_waitcnt vmcnt(0)
	v_cmp_eq_u64_e32 vcc, 0, v[2:3]
	s_cbranch_vccnz .LBB3_138
; %bb.137:
	global_load_dword v0, v[0:1], off offset:24
	v_mov_b32_e32 v1, 0
	buffer_wbl2
	s_waitcnt vmcnt(0)
	global_store_dwordx2 v[2:3], v[0:1], off
	v_and_b32_e32 v0, 0xffffff, v0
	v_readfirstlane_b32 m0, v0
	s_sendmsg sendmsg(MSG_INTERRUPT)
.LBB3_138:
	s_or_b64 exec, exec, s[6:7]
	s_branch .LBB3_142
.LBB3_139:                              ;   in Loop: Header=BB3_142 Depth=1
	s_or_b64 exec, exec, s[6:7]
	v_readfirstlane_b32 s6, v0
	s_cmp_eq_u32 s6, 0
	s_cbranch_scc1 .LBB3_141
; %bb.140:                              ;   in Loop: Header=BB3_142 Depth=1
	s_sleep 1
	s_cbranch_execnz .LBB3_142
	s_branch .LBB3_144
.LBB3_141:
	s_branch .LBB3_144
.LBB3_142:                              ; =>This Inner Loop Header: Depth=1
	v_mov_b32_e32 v0, 1
	s_and_saveexec_b64 s[6:7], s[0:1]
	s_cbranch_execz .LBB3_139
; %bb.143:                              ;   in Loop: Header=BB3_142 Depth=1
	global_load_dword v0, v[8:9], off offset:20 glc
	s_waitcnt vmcnt(0)
	buffer_invl2
	buffer_wbinvl1_vol
	v_and_b32_e32 v0, 1, v0
	s_branch .LBB3_139
.LBB3_144:
	global_load_dwordx2 v[2:3], v[6:7], off
	s_and_saveexec_b64 s[6:7], s[0:1]
	s_cbranch_execz .LBB3_147
; %bb.145:
	v_mov_b32_e32 v8, 0
	global_load_dwordx2 v[0:1], v8, s[2:3] offset:40
	global_load_dwordx2 v[10:11], v8, s[2:3] offset:24 glc
	global_load_dwordx2 v[12:13], v8, s[2:3]
	v_mov_b32_e32 v5, s5
	s_mov_b64 s[0:1], 0
	s_waitcnt vmcnt(2)
	v_add_co_u32_e32 v7, vcc, 1, v0
	v_addc_co_u32_e32 v9, vcc, 0, v1, vcc
	v_add_co_u32_e32 v4, vcc, s4, v7
	v_addc_co_u32_e32 v5, vcc, v9, v5, vcc
	v_cmp_eq_u64_e32 vcc, 0, v[4:5]
	v_cndmask_b32_e32 v5, v5, v9, vcc
	v_cndmask_b32_e32 v4, v4, v7, vcc
	v_and_b32_e32 v1, v5, v1
	v_and_b32_e32 v0, v4, v0
	v_mul_lo_u32 v1, v1, 24
	v_mul_hi_u32 v7, v0, 24
	v_mul_lo_u32 v0, v0, 24
	v_add_u32_e32 v1, v7, v1
	s_waitcnt vmcnt(0)
	v_add_co_u32_e32 v0, vcc, v12, v0
	v_addc_co_u32_e32 v1, vcc, v13, v1, vcc
	v_mov_b32_e32 v6, v10
	global_store_dwordx2 v[0:1], v[10:11], off
	v_mov_b32_e32 v7, v11
	buffer_wbl2
	s_waitcnt vmcnt(0)
	global_atomic_cmpswap_x2 v[6:7], v8, v[4:7], s[2:3] offset:24 glc
	s_waitcnt vmcnt(0)
	v_cmp_ne_u64_e32 vcc, v[6:7], v[10:11]
	s_and_b64 exec, exec, vcc
	s_cbranch_execz .LBB3_147
.LBB3_146:                              ; =>This Inner Loop Header: Depth=1
	s_sleep 1
	global_store_dwordx2 v[0:1], v[6:7], off
	buffer_wbl2
	s_waitcnt vmcnt(0)
	global_atomic_cmpswap_x2 v[10:11], v8, v[4:7], s[2:3] offset:24 glc
	s_waitcnt vmcnt(0)
	v_cmp_eq_u64_e32 vcc, v[10:11], v[6:7]
	s_or_b64 s[0:1], vcc, s[0:1]
	v_pk_mov_b32 v[6:7], v[10:11], v[10:11] op_sel:[0,1]
	s_andn2_b64 exec, exec, s[0:1]
	s_cbranch_execnz .LBB3_146
.LBB3_147:
	s_or_b64 exec, exec, s[6:7]
.LBB3_148:
	v_readfirstlane_b32 s0, v34
	v_cmp_eq_u32_e64 s[0:1], s0, v34
	s_waitcnt vmcnt(0)
	v_pk_mov_b32 v[0:1], 0, 0
	s_and_saveexec_b64 s[4:5], s[0:1]
	s_cbranch_execz .LBB3_154
; %bb.149:
	v_mov_b32_e32 v4, 0
	global_load_dwordx2 v[8:9], v4, s[2:3] offset:24 glc
	s_waitcnt vmcnt(0)
	buffer_invl2
	buffer_wbinvl1_vol
	global_load_dwordx2 v[0:1], v4, s[2:3] offset:40
	global_load_dwordx2 v[6:7], v4, s[2:3]
	s_waitcnt vmcnt(1)
	v_and_b32_e32 v0, v0, v8
	v_and_b32_e32 v1, v1, v9
	v_mul_lo_u32 v1, v1, 24
	v_mul_hi_u32 v5, v0, 24
	v_mul_lo_u32 v0, v0, 24
	v_add_u32_e32 v1, v5, v1
	s_waitcnt vmcnt(0)
	v_add_co_u32_e32 v0, vcc, v6, v0
	v_addc_co_u32_e32 v1, vcc, v7, v1, vcc
	global_load_dwordx2 v[6:7], v[0:1], off glc
	s_waitcnt vmcnt(0)
	global_atomic_cmpswap_x2 v[0:1], v4, v[6:9], s[2:3] offset:24 glc
	s_waitcnt vmcnt(0)
	buffer_invl2
	buffer_wbinvl1_vol
	v_cmp_ne_u64_e32 vcc, v[0:1], v[8:9]
	s_and_saveexec_b64 s[6:7], vcc
	s_cbranch_execz .LBB3_153
; %bb.150:
	s_mov_b64 s[8:9], 0
.LBB3_151:                              ; =>This Inner Loop Header: Depth=1
	s_sleep 1
	global_load_dwordx2 v[6:7], v4, s[2:3] offset:40
	global_load_dwordx2 v[10:11], v4, s[2:3]
	v_pk_mov_b32 v[8:9], v[0:1], v[0:1] op_sel:[0,1]
	s_waitcnt vmcnt(1)
	v_and_b32_e32 v0, v6, v8
	s_waitcnt vmcnt(0)
	v_mad_u64_u32 v[0:1], s[10:11], v0, 24, v[10:11]
	v_and_b32_e32 v5, v7, v9
	v_mov_b32_e32 v6, v1
	v_mad_u64_u32 v[6:7], s[10:11], v5, 24, v[6:7]
	v_mov_b32_e32 v1, v6
	global_load_dwordx2 v[6:7], v[0:1], off glc
	s_waitcnt vmcnt(0)
	global_atomic_cmpswap_x2 v[0:1], v4, v[6:9], s[2:3] offset:24 glc
	s_waitcnt vmcnt(0)
	buffer_invl2
	buffer_wbinvl1_vol
	v_cmp_eq_u64_e32 vcc, v[0:1], v[8:9]
	s_or_b64 s[8:9], vcc, s[8:9]
	s_andn2_b64 exec, exec, s[8:9]
	s_cbranch_execnz .LBB3_151
; %bb.152:
	s_or_b64 exec, exec, s[8:9]
.LBB3_153:
	s_or_b64 exec, exec, s[6:7]
.LBB3_154:
	s_or_b64 exec, exec, s[4:5]
	v_mov_b32_e32 v5, 0
	global_load_dwordx2 v[10:11], v5, s[2:3] offset:40
	global_load_dwordx4 v[6:9], v5, s[2:3]
	v_readfirstlane_b32 s4, v0
	v_readfirstlane_b32 s5, v1
	s_mov_b64 s[6:7], exec
	s_waitcnt vmcnt(1)
	v_readfirstlane_b32 s8, v10
	v_readfirstlane_b32 s9, v11
	s_and_b64 s[8:9], s[4:5], s[8:9]
	s_mul_i32 s10, s9, 24
	s_mul_hi_u32 s11, s8, 24
	s_mul_i32 s12, s8, 24
	s_add_i32 s10, s11, s10
	v_mov_b32_e32 v0, s10
	s_waitcnt vmcnt(0)
	v_add_co_u32_e32 v10, vcc, s12, v6
	v_addc_co_u32_e32 v11, vcc, v7, v0, vcc
	s_and_saveexec_b64 s[10:11], s[0:1]
	s_cbranch_execz .LBB3_156
; %bb.155:
	v_pk_mov_b32 v[12:13], s[6:7], s[6:7] op_sel:[0,1]
	v_mov_b32_e32 v14, 2
	v_mov_b32_e32 v15, 1
	global_store_dwordx4 v[10:11], v[12:15], off offset:8
.LBB3_156:
	s_or_b64 exec, exec, s[10:11]
	s_lshl_b64 s[6:7], s[8:9], 12
	v_mov_b32_e32 v1, s7
	v_add_co_u32_e32 v0, vcc, s6, v8
	v_addc_co_u32_e32 v1, vcc, v9, v1, vcc
	s_mov_b32 s8, 0
	s_movk_i32 s6, 0xff1f
	v_and_or_b32 v2, v2, s6, 32
	v_add_co_u32_e32 v8, vcc, v0, v29
	v_mov_b32_e32 v4, s19
	v_readfirstlane_b32 s6, v0
	v_readfirstlane_b32 s7, v1
	s_mov_b32 s9, s8
	v_addc_co_u32_e32 v9, vcc, 0, v1, vcc
	s_mov_b32 s10, s8
	s_mov_b32 s11, s8
	s_nop 0
	global_store_dwordx4 v29, v[2:5], s[6:7]
	v_pk_mov_b32 v[0:1], s[8:9], s[8:9] op_sel:[0,1]
	v_pk_mov_b32 v[2:3], s[10:11], s[10:11] op_sel:[0,1]
	global_store_dwordx4 v29, v[0:3], s[6:7] offset:16
	global_store_dwordx4 v29, v[0:3], s[6:7] offset:32
	;; [unrolled: 1-line block ×3, first 2 shown]
	s_and_saveexec_b64 s[6:7], s[0:1]
	s_cbranch_execz .LBB3_164
; %bb.157:
	v_mov_b32_e32 v12, 0
	global_load_dwordx2 v[16:17], v12, s[2:3] offset:32 glc
	global_load_dwordx2 v[0:1], v12, s[2:3] offset:40
	v_mov_b32_e32 v14, s4
	v_mov_b32_e32 v15, s5
	s_waitcnt vmcnt(0)
	v_readfirstlane_b32 s8, v0
	v_readfirstlane_b32 s9, v1
	s_and_b64 s[8:9], s[8:9], s[4:5]
	s_mul_i32 s9, s9, 24
	s_mul_hi_u32 s10, s8, 24
	s_mul_i32 s8, s8, 24
	s_add_i32 s9, s10, s9
	v_mov_b32_e32 v0, s9
	v_add_co_u32_e32 v4, vcc, s8, v6
	v_addc_co_u32_e32 v5, vcc, v7, v0, vcc
	global_store_dwordx2 v[4:5], v[16:17], off
	buffer_wbl2
	s_waitcnt vmcnt(0)
	global_atomic_cmpswap_x2 v[2:3], v12, v[14:17], s[2:3] offset:32 glc
	s_waitcnt vmcnt(0)
	v_cmp_ne_u64_e32 vcc, v[2:3], v[16:17]
	s_and_saveexec_b64 s[8:9], vcc
	s_cbranch_execz .LBB3_160
; %bb.158:
	s_mov_b64 s[10:11], 0
.LBB3_159:                              ; =>This Inner Loop Header: Depth=1
	s_sleep 1
	global_store_dwordx2 v[4:5], v[2:3], off
	v_mov_b32_e32 v0, s4
	v_mov_b32_e32 v1, s5
	buffer_wbl2
	s_waitcnt vmcnt(0)
	global_atomic_cmpswap_x2 v[0:1], v12, v[0:3], s[2:3] offset:32 glc
	s_waitcnt vmcnt(0)
	v_cmp_eq_u64_e32 vcc, v[0:1], v[2:3]
	s_or_b64 s[10:11], vcc, s[10:11]
	v_pk_mov_b32 v[2:3], v[0:1], v[0:1] op_sel:[0,1]
	s_andn2_b64 exec, exec, s[10:11]
	s_cbranch_execnz .LBB3_159
.LBB3_160:
	s_or_b64 exec, exec, s[8:9]
	v_mov_b32_e32 v3, 0
	global_load_dwordx2 v[0:1], v3, s[2:3] offset:16
	s_mov_b64 s[8:9], exec
	v_mbcnt_lo_u32_b32 v2, s8, 0
	v_mbcnt_hi_u32_b32 v2, s9, v2
	v_cmp_eq_u32_e32 vcc, 0, v2
	s_and_saveexec_b64 s[10:11], vcc
	s_cbranch_execz .LBB3_162
; %bb.161:
	s_bcnt1_i32_b64 s8, s[8:9]
	v_mov_b32_e32 v2, s8
	buffer_wbl2
	s_waitcnt vmcnt(0)
	global_atomic_add_x2 v[0:1], v[2:3], off offset:8
.LBB3_162:
	s_or_b64 exec, exec, s[10:11]
	s_waitcnt vmcnt(0)
	global_load_dwordx2 v[2:3], v[0:1], off offset:16
	s_waitcnt vmcnt(0)
	v_cmp_eq_u64_e32 vcc, 0, v[2:3]
	s_cbranch_vccnz .LBB3_164
; %bb.163:
	global_load_dword v0, v[0:1], off offset:24
	v_mov_b32_e32 v1, 0
	buffer_wbl2
	s_waitcnt vmcnt(0)
	global_store_dwordx2 v[2:3], v[0:1], off
	v_and_b32_e32 v0, 0xffffff, v0
	v_readfirstlane_b32 m0, v0
	s_sendmsg sendmsg(MSG_INTERRUPT)
.LBB3_164:
	s_or_b64 exec, exec, s[6:7]
	s_branch .LBB3_168
.LBB3_165:                              ;   in Loop: Header=BB3_168 Depth=1
	s_or_b64 exec, exec, s[6:7]
	v_readfirstlane_b32 s6, v0
	s_cmp_eq_u32 s6, 0
	s_cbranch_scc1 .LBB3_167
; %bb.166:                              ;   in Loop: Header=BB3_168 Depth=1
	s_sleep 1
	s_cbranch_execnz .LBB3_168
	s_branch .LBB3_170
.LBB3_167:
	s_branch .LBB3_170
.LBB3_168:                              ; =>This Inner Loop Header: Depth=1
	v_mov_b32_e32 v0, 1
	s_and_saveexec_b64 s[6:7], s[0:1]
	s_cbranch_execz .LBB3_165
; %bb.169:                              ;   in Loop: Header=BB3_168 Depth=1
	global_load_dword v0, v[10:11], off offset:20 glc
	s_waitcnt vmcnt(0)
	buffer_invl2
	buffer_wbinvl1_vol
	v_and_b32_e32 v0, 1, v0
	s_branch .LBB3_165
.LBB3_170:
	global_load_dwordx2 v[0:1], v[8:9], off
	s_and_saveexec_b64 s[6:7], s[0:1]
	s_cbranch_execz .LBB3_173
; %bb.171:
	v_mov_b32_e32 v8, 0
	global_load_dwordx2 v[6:7], v8, s[2:3] offset:40
	global_load_dwordx2 v[10:11], v8, s[2:3] offset:24 glc
	global_load_dwordx2 v[12:13], v8, s[2:3]
	v_mov_b32_e32 v3, s5
	s_mov_b64 s[0:1], 0
	s_waitcnt vmcnt(2)
	v_add_co_u32_e32 v5, vcc, 1, v6
	v_addc_co_u32_e32 v9, vcc, 0, v7, vcc
	v_add_co_u32_e32 v2, vcc, s4, v5
	v_addc_co_u32_e32 v3, vcc, v9, v3, vcc
	v_cmp_eq_u64_e32 vcc, 0, v[2:3]
	v_cndmask_b32_e32 v3, v3, v9, vcc
	v_cndmask_b32_e32 v2, v2, v5, vcc
	v_and_b32_e32 v5, v3, v7
	v_and_b32_e32 v6, v2, v6
	v_mul_lo_u32 v5, v5, 24
	v_mul_hi_u32 v7, v6, 24
	v_mul_lo_u32 v6, v6, 24
	v_add_u32_e32 v5, v7, v5
	s_waitcnt vmcnt(0)
	v_add_co_u32_e32 v6, vcc, v12, v6
	v_addc_co_u32_e32 v7, vcc, v13, v5, vcc
	v_mov_b32_e32 v4, v10
	global_store_dwordx2 v[6:7], v[10:11], off
	v_mov_b32_e32 v5, v11
	buffer_wbl2
	s_waitcnt vmcnt(0)
	global_atomic_cmpswap_x2 v[4:5], v8, v[2:5], s[2:3] offset:24 glc
	s_waitcnt vmcnt(0)
	v_cmp_ne_u64_e32 vcc, v[4:5], v[10:11]
	s_and_b64 exec, exec, vcc
	s_cbranch_execz .LBB3_173
.LBB3_172:                              ; =>This Inner Loop Header: Depth=1
	s_sleep 1
	global_store_dwordx2 v[6:7], v[4:5], off
	buffer_wbl2
	s_waitcnt vmcnt(0)
	global_atomic_cmpswap_x2 v[10:11], v8, v[2:5], s[2:3] offset:24 glc
	s_waitcnt vmcnt(0)
	v_cmp_eq_u64_e32 vcc, v[10:11], v[4:5]
	s_or_b64 s[0:1], vcc, s[0:1]
	v_pk_mov_b32 v[4:5], v[10:11], v[10:11] op_sel:[0,1]
	s_andn2_b64 exec, exec, s[0:1]
	s_cbranch_execnz .LBB3_172
.LBB3_173:
	s_or_b64 exec, exec, s[6:7]
	v_readfirstlane_b32 s0, v34
	v_cmp_eq_u32_e64 s[0:1], s0, v34
	v_pk_mov_b32 v[8:9], 0, 0
	s_and_saveexec_b64 s[4:5], s[0:1]
	s_cbranch_execz .LBB3_179
; %bb.174:
	v_mov_b32_e32 v2, 0
	global_load_dwordx2 v[6:7], v2, s[2:3] offset:24 glc
	s_waitcnt vmcnt(0)
	buffer_invl2
	buffer_wbinvl1_vol
	global_load_dwordx2 v[4:5], v2, s[2:3] offset:40
	global_load_dwordx2 v[8:9], v2, s[2:3]
	s_waitcnt vmcnt(1)
	v_and_b32_e32 v3, v4, v6
	v_and_b32_e32 v4, v5, v7
	v_mul_lo_u32 v4, v4, 24
	v_mul_hi_u32 v5, v3, 24
	v_mul_lo_u32 v3, v3, 24
	v_add_u32_e32 v5, v5, v4
	s_waitcnt vmcnt(0)
	v_add_co_u32_e32 v4, vcc, v8, v3
	v_addc_co_u32_e32 v5, vcc, v9, v5, vcc
	global_load_dwordx2 v[4:5], v[4:5], off glc
	s_waitcnt vmcnt(0)
	global_atomic_cmpswap_x2 v[8:9], v2, v[4:7], s[2:3] offset:24 glc
	s_waitcnt vmcnt(0)
	buffer_invl2
	buffer_wbinvl1_vol
	v_cmp_ne_u64_e32 vcc, v[8:9], v[6:7]
	s_and_saveexec_b64 s[6:7], vcc
	s_cbranch_execz .LBB3_178
; %bb.175:
	s_mov_b64 s[8:9], 0
.LBB3_176:                              ; =>This Inner Loop Header: Depth=1
	s_sleep 1
	global_load_dwordx2 v[4:5], v2, s[2:3] offset:40
	global_load_dwordx2 v[10:11], v2, s[2:3]
	v_pk_mov_b32 v[6:7], v[8:9], v[8:9] op_sel:[0,1]
	s_waitcnt vmcnt(1)
	v_and_b32_e32 v4, v4, v6
	v_and_b32_e32 v3, v5, v7
	s_waitcnt vmcnt(0)
	v_mad_u64_u32 v[4:5], s[10:11], v4, 24, v[10:11]
	v_mov_b32_e32 v8, v5
	v_mad_u64_u32 v[8:9], s[10:11], v3, 24, v[8:9]
	v_mov_b32_e32 v5, v8
	global_load_dwordx2 v[4:5], v[4:5], off glc
	s_waitcnt vmcnt(0)
	global_atomic_cmpswap_x2 v[8:9], v2, v[4:7], s[2:3] offset:24 glc
	s_waitcnt vmcnt(0)
	buffer_invl2
	buffer_wbinvl1_vol
	v_cmp_eq_u64_e32 vcc, v[8:9], v[6:7]
	s_or_b64 s[8:9], vcc, s[8:9]
	s_andn2_b64 exec, exec, s[8:9]
	s_cbranch_execnz .LBB3_176
; %bb.177:
	s_or_b64 exec, exec, s[8:9]
.LBB3_178:
	s_or_b64 exec, exec, s[6:7]
.LBB3_179:
	s_or_b64 exec, exec, s[4:5]
	v_mov_b32_e32 v3, 0
	global_load_dwordx2 v[10:11], v3, s[2:3] offset:40
	global_load_dwordx4 v[4:7], v3, s[2:3]
	v_readfirstlane_b32 s4, v8
	v_readfirstlane_b32 s5, v9
	s_mov_b64 s[6:7], exec
	s_waitcnt vmcnt(1)
	v_readfirstlane_b32 s8, v10
	v_readfirstlane_b32 s9, v11
	s_and_b64 s[8:9], s[4:5], s[8:9]
	s_mul_i32 s10, s9, 24
	s_mul_hi_u32 s11, s8, 24
	s_mul_i32 s12, s8, 24
	s_add_i32 s10, s11, s10
	v_mov_b32_e32 v2, s10
	s_waitcnt vmcnt(0)
	v_add_co_u32_e32 v8, vcc, s12, v4
	v_addc_co_u32_e32 v9, vcc, v5, v2, vcc
	s_and_saveexec_b64 s[10:11], s[0:1]
	s_cbranch_execz .LBB3_181
; %bb.180:
	v_pk_mov_b32 v[10:11], s[6:7], s[6:7] op_sel:[0,1]
	v_mov_b32_e32 v12, 2
	v_mov_b32_e32 v13, 1
	global_store_dwordx4 v[8:9], v[10:13], off offset:8
.LBB3_181:
	s_or_b64 exec, exec, s[10:11]
	s_lshl_b64 s[6:7], s[8:9], 12
	v_mov_b32_e32 v2, s7
	v_add_co_u32_e32 v6, vcc, s6, v6
	v_addc_co_u32_e32 v7, vcc, v7, v2, vcc
	s_mov_b32 s8, 0
	s_movk_i32 s6, 0xff1d
	v_and_or_b32 v0, v0, s6, 34
	v_mov_b32_e32 v2, s18
	v_readfirstlane_b32 s6, v6
	v_readfirstlane_b32 s7, v7
	s_mov_b32 s9, s8
	s_mov_b32 s10, s8
	;; [unrolled: 1-line block ×3, first 2 shown]
	s_nop 1
	global_store_dwordx4 v29, v[0:3], s[6:7]
	s_nop 0
	v_pk_mov_b32 v[0:1], s[8:9], s[8:9] op_sel:[0,1]
	v_pk_mov_b32 v[2:3], s[10:11], s[10:11] op_sel:[0,1]
	global_store_dwordx4 v29, v[0:3], s[6:7] offset:16
	global_store_dwordx4 v29, v[0:3], s[6:7] offset:32
	;; [unrolled: 1-line block ×3, first 2 shown]
	s_and_saveexec_b64 s[6:7], s[0:1]
	s_cbranch_execz .LBB3_189
; %bb.182:
	v_mov_b32_e32 v6, 0
	global_load_dwordx2 v[12:13], v6, s[2:3] offset:32 glc
	global_load_dwordx2 v[0:1], v6, s[2:3] offset:40
	v_mov_b32_e32 v10, s4
	v_mov_b32_e32 v11, s5
	s_waitcnt vmcnt(0)
	v_readfirstlane_b32 s8, v0
	v_readfirstlane_b32 s9, v1
	s_and_b64 s[8:9], s[8:9], s[4:5]
	s_mul_i32 s9, s9, 24
	s_mul_hi_u32 s10, s8, 24
	s_mul_i32 s8, s8, 24
	s_add_i32 s9, s10, s9
	v_mov_b32_e32 v0, s9
	v_add_co_u32_e32 v4, vcc, s8, v4
	v_addc_co_u32_e32 v5, vcc, v5, v0, vcc
	global_store_dwordx2 v[4:5], v[12:13], off
	buffer_wbl2
	s_waitcnt vmcnt(0)
	global_atomic_cmpswap_x2 v[2:3], v6, v[10:13], s[2:3] offset:32 glc
	s_waitcnt vmcnt(0)
	v_cmp_ne_u64_e32 vcc, v[2:3], v[12:13]
	s_and_saveexec_b64 s[8:9], vcc
	s_cbranch_execz .LBB3_185
; %bb.183:
	s_mov_b64 s[10:11], 0
.LBB3_184:                              ; =>This Inner Loop Header: Depth=1
	s_sleep 1
	global_store_dwordx2 v[4:5], v[2:3], off
	v_mov_b32_e32 v0, s4
	v_mov_b32_e32 v1, s5
	buffer_wbl2
	s_waitcnt vmcnt(0)
	global_atomic_cmpswap_x2 v[0:1], v6, v[0:3], s[2:3] offset:32 glc
	s_waitcnt vmcnt(0)
	v_cmp_eq_u64_e32 vcc, v[0:1], v[2:3]
	s_or_b64 s[10:11], vcc, s[10:11]
	v_pk_mov_b32 v[2:3], v[0:1], v[0:1] op_sel:[0,1]
	s_andn2_b64 exec, exec, s[10:11]
	s_cbranch_execnz .LBB3_184
.LBB3_185:
	s_or_b64 exec, exec, s[8:9]
	v_mov_b32_e32 v3, 0
	global_load_dwordx2 v[0:1], v3, s[2:3] offset:16
	s_mov_b64 s[8:9], exec
	v_mbcnt_lo_u32_b32 v2, s8, 0
	v_mbcnt_hi_u32_b32 v2, s9, v2
	v_cmp_eq_u32_e32 vcc, 0, v2
	s_and_saveexec_b64 s[10:11], vcc
	s_cbranch_execz .LBB3_187
; %bb.186:
	s_bcnt1_i32_b64 s8, s[8:9]
	v_mov_b32_e32 v2, s8
	buffer_wbl2
	s_waitcnt vmcnt(0)
	global_atomic_add_x2 v[0:1], v[2:3], off offset:8
.LBB3_187:
	s_or_b64 exec, exec, s[10:11]
	s_waitcnt vmcnt(0)
	global_load_dwordx2 v[2:3], v[0:1], off offset:16
	s_waitcnt vmcnt(0)
	v_cmp_eq_u64_e32 vcc, 0, v[2:3]
	s_cbranch_vccnz .LBB3_189
; %bb.188:
	global_load_dword v0, v[0:1], off offset:24
	v_mov_b32_e32 v1, 0
	buffer_wbl2
	s_waitcnt vmcnt(0)
	global_store_dwordx2 v[2:3], v[0:1], off
	v_and_b32_e32 v0, 0xffffff, v0
	v_readfirstlane_b32 m0, v0
	s_sendmsg sendmsg(MSG_INTERRUPT)
.LBB3_189:
	s_or_b64 exec, exec, s[6:7]
	s_branch .LBB3_193
.LBB3_190:                              ;   in Loop: Header=BB3_193 Depth=1
	s_or_b64 exec, exec, s[6:7]
	v_readfirstlane_b32 s6, v0
	s_cmp_eq_u32 s6, 0
	s_cbranch_scc1 .LBB3_192
; %bb.191:                              ;   in Loop: Header=BB3_193 Depth=1
	s_sleep 1
	s_cbranch_execnz .LBB3_193
	s_branch .LBB3_195
.LBB3_192:
	s_branch .LBB3_195
.LBB3_193:                              ; =>This Inner Loop Header: Depth=1
	v_mov_b32_e32 v0, 1
	s_and_saveexec_b64 s[6:7], s[0:1]
	s_cbranch_execz .LBB3_190
; %bb.194:                              ;   in Loop: Header=BB3_193 Depth=1
	global_load_dword v0, v[8:9], off offset:20 glc
	s_waitcnt vmcnt(0)
	buffer_invl2
	buffer_wbinvl1_vol
	v_and_b32_e32 v0, 1, v0
	s_branch .LBB3_190
.LBB3_195:
	s_and_saveexec_b64 s[6:7], s[0:1]
	s_cbranch_execz .LBB3_198
; %bb.196:
	v_mov_b32_e32 v6, 0
	global_load_dwordx2 v[4:5], v6, s[2:3] offset:40
	global_load_dwordx2 v[8:9], v6, s[2:3] offset:24 glc
	global_load_dwordx2 v[10:11], v6, s[2:3]
	v_mov_b32_e32 v1, s5
	s_mov_b64 s[0:1], 0
	s_waitcnt vmcnt(2)
	v_add_co_u32_e32 v3, vcc, 1, v4
	v_addc_co_u32_e32 v7, vcc, 0, v5, vcc
	v_add_co_u32_e32 v0, vcc, s4, v3
	v_addc_co_u32_e32 v1, vcc, v7, v1, vcc
	v_cmp_eq_u64_e32 vcc, 0, v[0:1]
	v_cndmask_b32_e32 v1, v1, v7, vcc
	v_cndmask_b32_e32 v0, v0, v3, vcc
	v_and_b32_e32 v3, v1, v5
	v_and_b32_e32 v4, v0, v4
	v_mul_lo_u32 v3, v3, 24
	v_mul_hi_u32 v5, v4, 24
	v_mul_lo_u32 v4, v4, 24
	v_add_u32_e32 v3, v5, v3
	s_waitcnt vmcnt(0)
	v_add_co_u32_e32 v4, vcc, v10, v4
	v_addc_co_u32_e32 v5, vcc, v11, v3, vcc
	v_mov_b32_e32 v2, v8
	global_store_dwordx2 v[4:5], v[8:9], off
	v_mov_b32_e32 v3, v9
	buffer_wbl2
	s_waitcnt vmcnt(0)
	global_atomic_cmpswap_x2 v[2:3], v6, v[0:3], s[2:3] offset:24 glc
	s_waitcnt vmcnt(0)
	v_cmp_ne_u64_e32 vcc, v[2:3], v[8:9]
	s_and_b64 exec, exec, vcc
	s_cbranch_execz .LBB3_198
.LBB3_197:                              ; =>This Inner Loop Header: Depth=1
	s_sleep 1
	global_store_dwordx2 v[4:5], v[2:3], off
	buffer_wbl2
	s_waitcnt vmcnt(0)
	global_atomic_cmpswap_x2 v[8:9], v6, v[0:3], s[2:3] offset:24 glc
	s_waitcnt vmcnt(0)
	v_cmp_eq_u64_e32 vcc, v[8:9], v[2:3]
	s_or_b64 s[0:1], vcc, s[0:1]
	v_pk_mov_b32 v[2:3], v[8:9], v[8:9] op_sel:[0,1]
	s_andn2_b64 exec, exec, s[0:1]
	s_cbranch_execnz .LBB3_197
.LBB3_198:
	s_endpgm
	.section	.rodata,"a",@progbits
	.p2align	6, 0x0
	.amdhsa_kernel _Z9printMffcPiS_S_PKiS1_iii
		.amdhsa_group_segment_fixed_size 0
		.amdhsa_private_segment_fixed_size 0
		.amdhsa_kernarg_size 312
		.amdhsa_user_sgpr_count 6
		.amdhsa_user_sgpr_private_segment_buffer 1
		.amdhsa_user_sgpr_dispatch_ptr 0
		.amdhsa_user_sgpr_queue_ptr 0
		.amdhsa_user_sgpr_kernarg_segment_ptr 1
		.amdhsa_user_sgpr_dispatch_id 0
		.amdhsa_user_sgpr_flat_scratch_init 0
		.amdhsa_user_sgpr_kernarg_preload_length 0
		.amdhsa_user_sgpr_kernarg_preload_offset 0
		.amdhsa_user_sgpr_private_segment_size 0
		.amdhsa_uses_dynamic_stack 0
		.amdhsa_system_sgpr_private_segment_wavefront_offset 0
		.amdhsa_system_sgpr_workgroup_id_x 1
		.amdhsa_system_sgpr_workgroup_id_y 0
		.amdhsa_system_sgpr_workgroup_id_z 0
		.amdhsa_system_sgpr_workgroup_info 0
		.amdhsa_system_vgpr_workitem_id 0
		.amdhsa_next_free_vgpr 35
		.amdhsa_next_free_sgpr 26
		.amdhsa_accum_offset 36
		.amdhsa_reserve_vcc 1
		.amdhsa_reserve_flat_scratch 0
		.amdhsa_float_round_mode_32 0
		.amdhsa_float_round_mode_16_64 0
		.amdhsa_float_denorm_mode_32 3
		.amdhsa_float_denorm_mode_16_64 3
		.amdhsa_dx10_clamp 1
		.amdhsa_ieee_mode 1
		.amdhsa_fp16_overflow 0
		.amdhsa_tg_split 0
		.amdhsa_exception_fp_ieee_invalid_op 0
		.amdhsa_exception_fp_denorm_src 0
		.amdhsa_exception_fp_ieee_div_zero 0
		.amdhsa_exception_fp_ieee_overflow 0
		.amdhsa_exception_fp_ieee_underflow 0
		.amdhsa_exception_fp_ieee_inexact 0
		.amdhsa_exception_int_div_zero 0
	.end_amdhsa_kernel
	.text
.Lfunc_end3:
	.size	_Z9printMffcPiS_S_PKiS1_iii, .Lfunc_end3-_Z9printMffcPiS_S_PKiS1_iii
                                        ; -- End function
	.section	.AMDGPU.csdata,"",@progbits
; Kernel info:
; codeLenInByte = 7752
; NumSgprs: 30
; NumVgprs: 35
; NumAgprs: 0
; TotalNumVgprs: 35
; ScratchSize: 0
; MemoryBound: 0
; FloatMode: 240
; IeeeMode: 1
; LDSByteSize: 0 bytes/workgroup (compile time only)
; SGPRBlocks: 3
; VGPRBlocks: 4
; NumSGPRsForWavesPerEU: 30
; NumVGPRsForWavesPerEU: 35
; AccumOffset: 36
; Occupancy: 8
; WaveLimiterHint : 1
; COMPUTE_PGM_RSRC2:SCRATCH_EN: 0
; COMPUTE_PGM_RSRC2:USER_SGPR: 6
; COMPUTE_PGM_RSRC2:TRAP_HANDLER: 0
; COMPUTE_PGM_RSRC2:TGID_X_EN: 1
; COMPUTE_PGM_RSRC2:TGID_Y_EN: 0
; COMPUTE_PGM_RSRC2:TGID_Z_EN: 0
; COMPUTE_PGM_RSRC2:TIDIG_COMP_CNT: 0
; COMPUTE_PGM_RSRC3_GFX90A:ACCUM_OFFSET: 8
; COMPUTE_PGM_RSRC3_GFX90A:TG_SPLIT: 0
	.text
	.p2alignl 6, 3212836864
	.fill 256, 4, 3212836864
	.type	.str,@object                    ; @.str
	.section	.rodata.str1.1,"aMS",@progbits,1
.str:
	.asciz	"id\tfanin0\tfanin1\n"
	.size	.str, 18

	.type	.str.1,@object                  ; @.str.1
.str.1:
	.asciz	"%d\t"
	.size	.str.1, 4

	.type	.str.2,@object                  ; @.str.2
.str.2:
	.asciz	"%s%d\t"
	.size	.str.2, 6

	.type	.str.3,@object                  ; @.str.3
.str.3:
	.asciz	"!"
	.size	.str.3, 2

	.type	.str.4,@object                  ; @.str.4
.str.4:
	.zero	1
	.size	.str.4, 1

	.type	.str.5,@object                  ; @.str.5
.str.5:
	.asciz	"%s%d\n"
	.size	.str.5, 6

	.type	.str.6,@object                  ; @.str.6
.str.6:
	.asciz	"-------AIG-------\n"
	.size	.str.6, 19

	.type	.str.7,@object                  ; @.str.7
.str.7:
	.asciz	"%d\n"
	.size	.str.7, 4

	.type	.str.8,@object                  ; @.str.8
.str.8:
	.asciz	"---POs---\n"
	.size	.str.8, 11

	.type	.str.9,@object                  ; @.str.9
.str.9:
	.asciz	"#nodes = %d\n"
	.size	.str.9, 13

	.type	.str.10,@object                 ; @.str.10
.str.10:
	.asciz	"-----------------\n"
	.size	.str.10, 19

	.type	.str.11,@object                 ; @.str.11
.str.11:
	.asciz	"Too small cone: %d, too large cut: %d\n"
	.size	.str.11, 39

	.type	__hip_cuid_473d407cdad663cd,@object ; @__hip_cuid_473d407cdad663cd
	.section	.bss,"aw",@nobits
	.globl	__hip_cuid_473d407cdad663cd
__hip_cuid_473d407cdad663cd:
	.byte	0                               ; 0x0
	.size	__hip_cuid_473d407cdad663cd, 1

	.ident	"AMD clang version 19.0.0git (https://github.com/RadeonOpenCompute/llvm-project roc-6.4.0 25133 c7fe45cf4b819c5991fe208aaa96edf142730f1d)"
	.section	".note.GNU-stack","",@progbits
	.addrsig
	.addrsig_sym __hip_cuid_473d407cdad663cd
	.amdgpu_metadata
---
amdhsa.kernels:
  - .agpr_count:     0
    .args:
      - .address_space:  global
        .offset:         0
        .size:           8
        .value_kind:     global_buffer
      - .address_space:  global
        .offset:         8
        .size:           8
        .value_kind:     global_buffer
      - .address_space:  global
        .offset:         16
        .size:           8
        .value_kind:     global_buffer
      - .offset:         24
        .size:           4
        .value_kind:     by_value
      - .offset:         28
        .size:           4
        .value_kind:     by_value
      - .offset:         32
        .size:           4
        .value_kind:     by_value
      - .offset:         40
        .size:           4
        .value_kind:     hidden_block_count_x
      - .offset:         44
        .size:           4
        .value_kind:     hidden_block_count_y
      - .offset:         48
        .size:           4
        .value_kind:     hidden_block_count_z
      - .offset:         52
        .size:           2
        .value_kind:     hidden_group_size_x
      - .offset:         54
        .size:           2
        .value_kind:     hidden_group_size_y
      - .offset:         56
        .size:           2
        .value_kind:     hidden_group_size_z
      - .offset:         58
        .size:           2
        .value_kind:     hidden_remainder_x
      - .offset:         60
        .size:           2
        .value_kind:     hidden_remainder_y
      - .offset:         62
        .size:           2
        .value_kind:     hidden_remainder_z
      - .offset:         80
        .size:           8
        .value_kind:     hidden_global_offset_x
      - .offset:         88
        .size:           8
        .value_kind:     hidden_global_offset_y
      - .offset:         96
        .size:           8
        .value_kind:     hidden_global_offset_z
      - .offset:         104
        .size:           2
        .value_kind:     hidden_grid_dims
      - .offset:         120
        .size:           8
        .value_kind:     hidden_hostcall_buffer
    .group_segment_fixed_size: 0
    .kernarg_segment_align: 8
    .kernarg_segment_size: 296
    .language:       OpenCL C
    .language_version:
      - 2
      - 0
    .max_flat_workgroup_size: 1024
    .name:           _Z9printAIGAPKiS0_S0_iii
    .private_segment_fixed_size: 0
    .sgpr_count:     47
    .sgpr_spill_count: 0
    .symbol:         _Z9printAIGAPKiS0_S0_iii.kd
    .uniform_work_group_size: 1
    .uses_dynamic_stack: false
    .vgpr_count:     44
    .vgpr_spill_count: 0
    .wavefront_size: 64
  - .agpr_count:     0
    .args:
      - .address_space:  global
        .offset:         0
        .size:           8
        .value_kind:     global_buffer
      - .address_space:  global
        .offset:         8
        .size:           8
        .value_kind:     global_buffer
      - .address_space:  global
        .offset:         16
        .size:           8
        .value_kind:     global_buffer
      - .offset:         24
        .size:           4
        .value_kind:     by_value
      - .offset:         28
        .size:           4
        .value_kind:     by_value
      - .offset:         32
        .size:           4
        .value_kind:     by_value
      - .offset:         40
        .size:           4
        .value_kind:     hidden_block_count_x
      - .offset:         44
        .size:           4
        .value_kind:     hidden_block_count_y
      - .offset:         48
        .size:           4
        .value_kind:     hidden_block_count_z
      - .offset:         52
        .size:           2
        .value_kind:     hidden_group_size_x
      - .offset:         54
        .size:           2
        .value_kind:     hidden_group_size_y
      - .offset:         56
        .size:           2
        .value_kind:     hidden_group_size_z
      - .offset:         58
        .size:           2
        .value_kind:     hidden_remainder_x
      - .offset:         60
        .size:           2
        .value_kind:     hidden_remainder_y
      - .offset:         62
        .size:           2
        .value_kind:     hidden_remainder_z
      - .offset:         80
        .size:           8
        .value_kind:     hidden_global_offset_x
      - .offset:         88
        .size:           8
        .value_kind:     hidden_global_offset_y
      - .offset:         96
        .size:           8
        .value_kind:     hidden_global_offset_z
      - .offset:         104
        .size:           2
        .value_kind:     hidden_grid_dims
      - .offset:         120
        .size:           8
        .value_kind:     hidden_hostcall_buffer
    .group_segment_fixed_size: 0
    .kernarg_segment_align: 8
    .kernarg_segment_size: 296
    .language:       OpenCL C
    .language_version:
      - 2
      - 0
    .max_flat_workgroup_size: 1024
    .name:           _Z8printAIGPKiS0_S0_iii
    .private_segment_fixed_size: 0
    .sgpr_count:     56
    .sgpr_spill_count: 0
    .symbol:         _Z8printAIGPKiS0_S0_iii.kd
    .uniform_work_group_size: 1
    .uses_dynamic_stack: false
    .vgpr_count:     44
    .vgpr_spill_count: 0
    .wavefront_size: 64
  - .agpr_count:     0
    .args:
      - .address_space:  global
        .offset:         0
        .size:           8
        .value_kind:     global_buffer
      - .address_space:  global
        .offset:         8
        .size:           8
        .value_kind:     global_buffer
      - .address_space:  global
        .offset:         16
        .size:           8
        .value_kind:     global_buffer
      - .address_space:  global
        .offset:         24
        .size:           8
        .value_kind:     global_buffer
      - .address_space:  global
        .offset:         32
        .size:           8
        .value_kind:     global_buffer
      - .offset:         40
        .size:           4
        .value_kind:     by_value
      - .offset:         44
        .size:           4
        .value_kind:     by_value
      - .offset:         48
        .size:           4
        .value_kind:     by_value
      - .offset:         56
        .size:           4
        .value_kind:     hidden_block_count_x
      - .offset:         60
        .size:           4
        .value_kind:     hidden_block_count_y
      - .offset:         64
        .size:           4
        .value_kind:     hidden_block_count_z
      - .offset:         68
        .size:           2
        .value_kind:     hidden_group_size_x
      - .offset:         70
        .size:           2
        .value_kind:     hidden_group_size_y
      - .offset:         72
        .size:           2
        .value_kind:     hidden_group_size_z
      - .offset:         74
        .size:           2
        .value_kind:     hidden_remainder_x
      - .offset:         76
        .size:           2
        .value_kind:     hidden_remainder_y
      - .offset:         78
        .size:           2
        .value_kind:     hidden_remainder_z
      - .offset:         96
        .size:           8
        .value_kind:     hidden_global_offset_x
      - .offset:         104
        .size:           8
        .value_kind:     hidden_global_offset_y
      - .offset:         112
        .size:           8
        .value_kind:     hidden_global_offset_z
      - .offset:         120
        .size:           2
        .value_kind:     hidden_grid_dims
      - .offset:         136
        .size:           8
        .value_kind:     hidden_hostcall_buffer
    .group_segment_fixed_size: 0
    .kernarg_segment_align: 8
    .kernarg_segment_size: 312
    .language:       OpenCL C
    .language_version:
      - 2
      - 0
    .max_flat_workgroup_size: 1024
    .name:           _Z9printMffcPiS_S_PKiS1_iii
    .private_segment_fixed_size: 0
    .sgpr_count:     30
    .sgpr_spill_count: 0
    .symbol:         _Z9printMffcPiS_S_PKiS1_iii.kd
    .uniform_work_group_size: 1
    .uses_dynamic_stack: false
    .vgpr_count:     35
    .vgpr_spill_count: 0
    .wavefront_size: 64
amdhsa.target:   amdgcn-amd-amdhsa--gfx90a
amdhsa.version:
  - 1
  - 2
...

	.end_amdgpu_metadata
